;; amdgpu-corpus repo=ROCm/rocFFT kind=compiled arch=gfx1030 opt=O3
	.text
	.amdgcn_target "amdgcn-amd-amdhsa--gfx1030"
	.amdhsa_code_object_version 6
	.protected	fft_rtc_fwd_len595_factors_7_17_5_wgs_51_tpt_17_halfLds_sp_op_CI_CI_sbrr_dirReg ; -- Begin function fft_rtc_fwd_len595_factors_7_17_5_wgs_51_tpt_17_halfLds_sp_op_CI_CI_sbrr_dirReg
	.globl	fft_rtc_fwd_len595_factors_7_17_5_wgs_51_tpt_17_halfLds_sp_op_CI_CI_sbrr_dirReg
	.p2align	8
	.type	fft_rtc_fwd_len595_factors_7_17_5_wgs_51_tpt_17_halfLds_sp_op_CI_CI_sbrr_dirReg,@function
fft_rtc_fwd_len595_factors_7_17_5_wgs_51_tpt_17_halfLds_sp_op_CI_CI_sbrr_dirReg: ; @fft_rtc_fwd_len595_factors_7_17_5_wgs_51_tpt_17_halfLds_sp_op_CI_CI_sbrr_dirReg
; %bb.0:
	s_clause 0x1
	s_load_dwordx4 s[16:19], s[4:5], 0x18
	s_load_dwordx4 s[12:15], s[4:5], 0x0
	v_mul_u32_u24_e32 v1, 0xf10, v0
	v_mov_b32_e32 v5, 0
	v_mov_b32_e32 v3, 0
	v_mov_b32_e32 v4, 0
	s_load_dwordx4 s[8:11], s[4:5], 0x58
	s_waitcnt lgkmcnt(0)
	s_load_dwordx2 s[20:21], s[16:17], 0x0
	s_load_dwordx2 s[2:3], s[18:19], 0x0
	v_lshrrev_b32_e32 v1, 16, v1
	v_cmp_lt_u64_e64 s0, s[14:15], 2
	v_mov_b32_e32 v17, v4
	v_mov_b32_e32 v16, v3
	v_mad_u64_u32 v[1:2], null, s6, 3, v[1:2]
	v_mov_b32_e32 v2, v5
	s_and_b32 vcc_lo, exec_lo, s0
	v_mov_b32_e32 v19, v2
	v_mov_b32_e32 v18, v1
	s_cbranch_vccnz .LBB0_8
; %bb.1:
	s_load_dwordx2 s[0:1], s[4:5], 0x10
	v_mov_b32_e32 v3, 0
	v_mov_b32_e32 v4, 0
	s_add_u32 s6, s18, 8
	v_mov_b32_e32 v8, v2
	s_addc_u32 s7, s19, 0
	v_mov_b32_e32 v7, v1
	v_mov_b32_e32 v17, v4
	s_add_u32 s22, s16, 8
	v_mov_b32_e32 v16, v3
	s_addc_u32 s23, s17, 0
	s_mov_b64 s[26:27], 1
	s_waitcnt lgkmcnt(0)
	s_add_u32 s24, s0, 8
	s_addc_u32 s25, s1, 0
.LBB0_2:                                ; =>This Inner Loop Header: Depth=1
	s_load_dwordx2 s[28:29], s[24:25], 0x0
                                        ; implicit-def: $vgpr18_vgpr19
	s_mov_b32 s0, exec_lo
	s_waitcnt lgkmcnt(0)
	v_or_b32_e32 v6, s29, v8
	v_cmpx_ne_u64_e32 0, v[5:6]
	s_xor_b32 s1, exec_lo, s0
	s_cbranch_execz .LBB0_4
; %bb.3:                                ;   in Loop: Header=BB0_2 Depth=1
	v_cvt_f32_u32_e32 v2, s28
	v_cvt_f32_u32_e32 v6, s29
	s_sub_u32 s0, 0, s28
	s_subb_u32 s30, 0, s29
	v_fmac_f32_e32 v2, 0x4f800000, v6
	v_rcp_f32_e32 v2, v2
	v_mul_f32_e32 v2, 0x5f7ffffc, v2
	v_mul_f32_e32 v6, 0x2f800000, v2
	v_trunc_f32_e32 v6, v6
	v_fmac_f32_e32 v2, 0xcf800000, v6
	v_cvt_u32_f32_e32 v6, v6
	v_cvt_u32_f32_e32 v2, v2
	v_mul_lo_u32 v9, s0, v6
	v_mul_hi_u32 v10, s0, v2
	v_mul_lo_u32 v11, s30, v2
	v_add_nc_u32_e32 v9, v10, v9
	v_mul_lo_u32 v10, s0, v2
	v_add_nc_u32_e32 v9, v9, v11
	v_mul_hi_u32 v11, v2, v10
	v_mul_lo_u32 v12, v2, v9
	v_mul_hi_u32 v13, v2, v9
	v_mul_hi_u32 v14, v6, v10
	v_mul_lo_u32 v10, v6, v10
	v_mul_hi_u32 v15, v6, v9
	v_mul_lo_u32 v9, v6, v9
	v_add_co_u32 v11, vcc_lo, v11, v12
	v_add_co_ci_u32_e32 v12, vcc_lo, 0, v13, vcc_lo
	v_add_co_u32 v10, vcc_lo, v11, v10
	v_add_co_ci_u32_e32 v10, vcc_lo, v12, v14, vcc_lo
	v_add_co_ci_u32_e32 v11, vcc_lo, 0, v15, vcc_lo
	v_add_co_u32 v9, vcc_lo, v10, v9
	v_add_co_ci_u32_e32 v10, vcc_lo, 0, v11, vcc_lo
	v_add_co_u32 v2, vcc_lo, v2, v9
	v_add_co_ci_u32_e32 v6, vcc_lo, v6, v10, vcc_lo
	v_mul_hi_u32 v9, s0, v2
	v_mul_lo_u32 v11, s30, v2
	v_mul_lo_u32 v10, s0, v6
	v_add_nc_u32_e32 v9, v9, v10
	v_mul_lo_u32 v10, s0, v2
	v_add_nc_u32_e32 v9, v9, v11
	v_mul_hi_u32 v11, v2, v10
	v_mul_lo_u32 v12, v2, v9
	v_mul_hi_u32 v13, v2, v9
	v_mul_hi_u32 v14, v6, v10
	v_mul_lo_u32 v10, v6, v10
	v_mul_hi_u32 v15, v6, v9
	v_mul_lo_u32 v9, v6, v9
	v_add_co_u32 v11, vcc_lo, v11, v12
	v_add_co_ci_u32_e32 v12, vcc_lo, 0, v13, vcc_lo
	v_add_co_u32 v10, vcc_lo, v11, v10
	v_add_co_ci_u32_e32 v10, vcc_lo, v12, v14, vcc_lo
	v_add_co_ci_u32_e32 v11, vcc_lo, 0, v15, vcc_lo
	v_add_co_u32 v9, vcc_lo, v10, v9
	v_add_co_ci_u32_e32 v10, vcc_lo, 0, v11, vcc_lo
	v_add_co_u32 v2, vcc_lo, v2, v9
	v_add_co_ci_u32_e32 v6, vcc_lo, v6, v10, vcc_lo
	v_mul_hi_u32 v15, v7, v2
	v_mad_u64_u32 v[11:12], null, v8, v2, 0
	v_mad_u64_u32 v[9:10], null, v7, v6, 0
	v_mad_u64_u32 v[13:14], null, v8, v6, 0
	v_add_co_u32 v2, vcc_lo, v15, v9
	v_add_co_ci_u32_e32 v6, vcc_lo, 0, v10, vcc_lo
	v_add_co_u32 v2, vcc_lo, v2, v11
	v_add_co_ci_u32_e32 v2, vcc_lo, v6, v12, vcc_lo
	v_add_co_ci_u32_e32 v6, vcc_lo, 0, v14, vcc_lo
	v_add_co_u32 v2, vcc_lo, v2, v13
	v_add_co_ci_u32_e32 v6, vcc_lo, 0, v6, vcc_lo
	v_mul_lo_u32 v11, s29, v2
	v_mad_u64_u32 v[9:10], null, s28, v2, 0
	v_mul_lo_u32 v12, s28, v6
	v_sub_co_u32 v9, vcc_lo, v7, v9
	v_add3_u32 v10, v10, v12, v11
	v_sub_nc_u32_e32 v11, v8, v10
	v_subrev_co_ci_u32_e64 v11, s0, s29, v11, vcc_lo
	v_add_co_u32 v12, s0, v2, 2
	v_add_co_ci_u32_e64 v13, s0, 0, v6, s0
	v_sub_co_u32 v14, s0, v9, s28
	v_sub_co_ci_u32_e32 v10, vcc_lo, v8, v10, vcc_lo
	v_subrev_co_ci_u32_e64 v11, s0, 0, v11, s0
	v_cmp_le_u32_e32 vcc_lo, s28, v14
	v_cmp_eq_u32_e64 s0, s29, v10
	v_cndmask_b32_e64 v14, 0, -1, vcc_lo
	v_cmp_le_u32_e32 vcc_lo, s29, v11
	v_cndmask_b32_e64 v15, 0, -1, vcc_lo
	v_cmp_le_u32_e32 vcc_lo, s28, v9
	;; [unrolled: 2-line block ×3, first 2 shown]
	v_cndmask_b32_e64 v18, 0, -1, vcc_lo
	v_cmp_eq_u32_e32 vcc_lo, s29, v11
	v_cndmask_b32_e64 v9, v18, v9, s0
	v_cndmask_b32_e32 v11, v15, v14, vcc_lo
	v_add_co_u32 v14, vcc_lo, v2, 1
	v_add_co_ci_u32_e32 v15, vcc_lo, 0, v6, vcc_lo
	v_cmp_ne_u32_e32 vcc_lo, 0, v11
	v_cndmask_b32_e32 v10, v15, v13, vcc_lo
	v_cndmask_b32_e32 v11, v14, v12, vcc_lo
	v_cmp_ne_u32_e32 vcc_lo, 0, v9
	v_cndmask_b32_e32 v19, v6, v10, vcc_lo
	v_cndmask_b32_e32 v18, v2, v11, vcc_lo
.LBB0_4:                                ;   in Loop: Header=BB0_2 Depth=1
	s_andn2_saveexec_b32 s0, s1
	s_cbranch_execz .LBB0_6
; %bb.5:                                ;   in Loop: Header=BB0_2 Depth=1
	v_cvt_f32_u32_e32 v2, s28
	s_sub_i32 s1, 0, s28
	v_mov_b32_e32 v19, v5
	v_rcp_iflag_f32_e32 v2, v2
	v_mul_f32_e32 v2, 0x4f7ffffe, v2
	v_cvt_u32_f32_e32 v2, v2
	v_mul_lo_u32 v6, s1, v2
	v_mul_hi_u32 v6, v2, v6
	v_add_nc_u32_e32 v2, v2, v6
	v_mul_hi_u32 v2, v7, v2
	v_mul_lo_u32 v6, v2, s28
	v_add_nc_u32_e32 v9, 1, v2
	v_sub_nc_u32_e32 v6, v7, v6
	v_subrev_nc_u32_e32 v10, s28, v6
	v_cmp_le_u32_e32 vcc_lo, s28, v6
	v_cndmask_b32_e32 v6, v6, v10, vcc_lo
	v_cndmask_b32_e32 v2, v2, v9, vcc_lo
	v_cmp_le_u32_e32 vcc_lo, s28, v6
	v_add_nc_u32_e32 v9, 1, v2
	v_cndmask_b32_e32 v18, v2, v9, vcc_lo
.LBB0_6:                                ;   in Loop: Header=BB0_2 Depth=1
	s_or_b32 exec_lo, exec_lo, s0
	v_mul_lo_u32 v2, v19, s28
	v_mul_lo_u32 v6, v18, s29
	s_load_dwordx2 s[0:1], s[22:23], 0x0
	v_mad_u64_u32 v[9:10], null, v18, s28, 0
	s_load_dwordx2 s[28:29], s[6:7], 0x0
	s_add_u32 s26, s26, 1
	s_addc_u32 s27, s27, 0
	s_add_u32 s6, s6, 8
	s_addc_u32 s7, s7, 0
	s_add_u32 s22, s22, 8
	v_add3_u32 v2, v10, v6, v2
	v_sub_co_u32 v6, vcc_lo, v7, v9
	s_addc_u32 s23, s23, 0
	s_add_u32 s24, s24, 8
	v_sub_co_ci_u32_e32 v2, vcc_lo, v8, v2, vcc_lo
	s_addc_u32 s25, s25, 0
	s_waitcnt lgkmcnt(0)
	v_mul_lo_u32 v7, s0, v2
	v_mul_lo_u32 v8, s1, v6
	v_mad_u64_u32 v[3:4], null, s0, v6, v[3:4]
	v_mul_lo_u32 v2, s28, v2
	v_mul_lo_u32 v9, s29, v6
	v_mad_u64_u32 v[16:17], null, s28, v6, v[16:17]
	v_cmp_ge_u64_e64 s0, s[26:27], s[14:15]
	v_add3_u32 v4, v8, v4, v7
	v_add3_u32 v17, v9, v17, v2
	s_and_b32 vcc_lo, exec_lo, s0
	s_cbranch_vccnz .LBB0_8
; %bb.7:                                ;   in Loop: Header=BB0_2 Depth=1
	v_mov_b32_e32 v7, v18
	v_mov_b32_e32 v8, v19
	s_branch .LBB0_2
.LBB0_8:
	s_load_dwordx2 s[0:1], s[4:5], 0x28
	v_mul_hi_u32 v2, 0xf0f0f10, v0
	s_lshl_b64 s[6:7], s[14:15], 3
                                        ; implicit-def: $sgpr14_sgpr15
                                        ; implicit-def: $vgpr124
                                        ; implicit-def: $vgpr125
                                        ; implicit-def: $vgpr128
                                        ; implicit-def: $vgpr129
                                        ; implicit-def: $vgpr130
	s_add_u32 s4, s18, s6
	s_addc_u32 s5, s19, s7
	s_waitcnt lgkmcnt(0)
	v_cmp_gt_u64_e32 vcc_lo, s[0:1], v[18:19]
	v_cmp_le_u64_e64 s0, s[0:1], v[18:19]
	s_and_saveexec_b32 s1, s0
	s_xor_b32 s0, exec_lo, s1
; %bb.9:
	v_mul_u32_u24_e32 v2, 17, v2
	s_mov_b64 s[14:15], 0
                                        ; implicit-def: $vgpr3_vgpr4
	v_sub_nc_u32_e32 v124, v0, v2
                                        ; implicit-def: $vgpr2
                                        ; implicit-def: $vgpr0
	v_add_nc_u32_e32 v125, 17, v124
	v_add_nc_u32_e32 v128, 34, v124
	v_add_nc_u32_e32 v129, 51, v124
	v_add_nc_u32_e32 v130, 0x44, v124
; %bb.10:
	s_or_saveexec_b32 s1, s0
	v_mov_b32_e32 v105, s15
	v_mov_b32_e32 v115, s15
	v_mov_b32_e32 v117, s15
	v_mov_b32_e32 v107, s15
	v_mov_b32_e32 v101, s15
	v_mov_b32_e32 v99, s15
	v_mov_b32_e32 v103, s15
	v_mov_b32_e32 v97, s15
	v_mov_b32_e32 v87, s15
	v_mov_b32_e32 v85, s15
	v_mov_b32_e32 v89, s15
	v_mov_b32_e32 v83, s15
	v_mov_b32_e32 v73, s15
	v_mov_b32_e32 v71, s15
	v_mov_b32_e32 v75, s15
	v_mov_b32_e32 v65, s15
	v_mov_b32_e32 v55, s15
	v_mov_b32_e32 v53, s15
	v_mov_b32_e32 v57, s15
	v_mov_b32_e32 v51, s15
	v_mov_b32_e32 v104, s14
	v_mov_b32_e32 v114, s14
	v_mov_b32_e32 v116, s14
	v_mov_b32_e32 v106, s14
	v_mov_b32_e32 v100, s14
	v_mov_b32_e32 v98, s14
	v_mov_b32_e32 v102, s14
	v_mov_b32_e32 v96, s14
	v_mov_b32_e32 v86, s14
	v_mov_b32_e32 v84, s14
	v_mov_b32_e32 v88, s14
	v_mov_b32_e32 v82, s14
	v_mov_b32_e32 v72, s14
	v_mov_b32_e32 v70, s14
	v_mov_b32_e32 v74, s14
	v_mov_b32_e32 v64, s14
	v_mov_b32_e32 v54, s14
	v_mov_b32_e32 v52, s14
	v_mov_b32_e32 v56, s14
	v_mov_b32_e32 v50, s14
                                        ; implicit-def: $vgpr119
                                        ; implicit-def: $vgpr121
                                        ; implicit-def: $vgpr123
                                        ; implicit-def: $vgpr91
                                        ; implicit-def: $vgpr93
                                        ; implicit-def: $vgpr95
                                        ; implicit-def: $vgpr77
                                        ; implicit-def: $vgpr63
                                        ; implicit-def: $vgpr61
                                        ; implicit-def: $vgpr59
                                        ; implicit-def: $vgpr81
                                        ; implicit-def: $vgpr79
                                        ; implicit-def: $vgpr113
                                        ; implicit-def: $vgpr111
                                        ; implicit-def: $vgpr109
	s_xor_b32 exec_lo, exec_lo, s1
	s_cbranch_execz .LBB0_12
; %bb.11:
	s_add_u32 s6, s16, s6
	s_addc_u32 s7, s17, s7
	v_mul_u32_u24_e32 v2, 17, v2
	s_load_dwordx2 s[6:7], s[6:7], 0x0
	v_sub_nc_u32_e32 v124, v0, v2
	v_lshlrev_b64 v[2:3], 3, v[3:4]
	v_mad_u64_u32 v[5:6], null, s20, v124, 0
	v_add_nc_u32_e32 v20, 0x55, v124
	v_add_nc_u32_e32 v23, 0xaa, v124
	;; [unrolled: 1-line block ×5, first 2 shown]
	v_mad_u64_u32 v[7:8], null, s20, v20, 0
	v_mov_b32_e32 v0, v6
	v_mad_u64_u32 v[9:10], null, s20, v23, 0
	s_waitcnt lgkmcnt(0)
	v_mul_lo_u32 v6, s7, v18
	v_mul_lo_u32 v21, s6, v19
	v_mad_u64_u32 v[11:12], null, s6, v18, 0
	v_mad_u64_u32 v[13:14], null, s21, v124, v[0:1]
	v_mov_b32_e32 v0, v8
	v_mov_b32_e32 v4, v10
	v_mad_u64_u32 v[14:15], null, s20, v24, 0
	v_add3_u32 v12, v12, v21, v6
	v_mad_u64_u32 v[20:21], null, s21, v20, v[0:1]
	v_mov_b32_e32 v6, v13
	v_mad_u64_u32 v[21:22], null, s20, v25, 0
	v_lshlrev_b64 v[10:11], 3, v[11:12]
	v_mad_u64_u32 v[12:13], null, s21, v23, v[4:5]
	v_mov_b32_e32 v8, v20
	v_lshlrev_b64 v[5:6], 3, v[5:6]
	v_mov_b32_e32 v4, v15
	v_add_co_u32 v0, s0, s8, v10
	v_add_co_ci_u32_e64 v11, s0, s9, v11, s0
	v_lshlrev_b64 v[7:8], 3, v[7:8]
	v_add_co_u32 v0, s0, v0, v2
	v_add_co_ci_u32_e64 v20, s0, v11, v3, s0
	v_add_nc_u32_e32 v23, 0x1a9, v124
	v_add_co_u32 v2, s0, v0, v5
	v_mov_b32_e32 v10, v12
	v_mad_u64_u32 v[11:12], null, s21, v24, v[4:5]
	v_add_co_ci_u32_e64 v3, s0, v20, v6, s0
	v_mad_u64_u32 v[12:13], null, s20, v23, 0
	v_add_co_u32 v4, s0, v0, v7
	v_add_co_ci_u32_e64 v5, s0, v20, v8, s0
	v_mov_b32_e32 v8, v22
	v_lshlrev_b64 v[6:7], 3, v[9:10]
	v_mov_b32_e32 v15, v11
	v_mov_b32_e32 v11, v13
	v_add_nc_u32_e32 v27, 0x66, v124
	v_mad_u64_u32 v[8:9], null, s21, v25, v[8:9]
	v_add_nc_u32_e32 v25, 0x1fe, v124
	v_lshlrev_b64 v[9:10], 3, v[14:15]
	v_mad_u64_u32 v[23:24], null, s21, v23, v[11:12]
	v_add_co_u32 v6, s0, v0, v6
	v_mad_u64_u32 v[14:15], null, s20, v25, 0
	v_mov_b32_e32 v22, v8
	v_add_co_ci_u32_e64 v7, s0, v20, v7, s0
	v_mov_b32_e32 v13, v23
	v_add_co_u32 v8, s0, v0, v9
	v_mad_u64_u32 v[23:24], null, s21, v25, v[15:16]
	v_add_co_ci_u32_e64 v9, s0, v20, v10, s0
	v_lshlrev_b64 v[10:11], 3, v[21:22]
	v_mad_u64_u32 v[21:22], null, s20, v125, 0
	v_add_nc_u32_e32 v29, 0xbb, v124
	v_mov_b32_e32 v15, v23
	v_mad_u64_u32 v[23:24], null, s20, v27, 0
	v_add_nc_u32_e32 v31, 0x110, v124
	v_add_nc_u32_e32 v33, 0x165, v124
	;; [unrolled: 1-line block ×6, first 2 shown]
	v_mad_u64_u32 v[25:26], null, s21, v125, v[22:23]
	v_add_nc_u32_e32 v43, 0xcc, v124
	v_add_nc_u32_e32 v45, 0x121, v124
	;; [unrolled: 1-line block ×4, first 2 shown]
	v_or_b32_e32 v51, 0x220, v124
	v_add_nc_u32_e32 v129, 51, v124
	v_mov_b32_e32 v22, v25
	v_mad_u64_u32 v[25:26], null, s20, v29, 0
	v_add_nc_u32_e32 v56, 0x88, v124
	v_lshlrev_b64 v[12:13], 3, v[12:13]
	v_add_co_u32 v10, s0, v0, v10
	v_lshlrev_b64 v[14:15], 3, v[14:15]
	v_add_co_ci_u32_e64 v11, s0, v20, v11, s0
	v_mad_u64_u32 v[27:28], null, s21, v27, v[24:25]
	v_add_co_u32 v12, s0, v0, v12
	v_lshlrev_b64 v[21:22], 3, v[21:22]
	v_add_co_ci_u32_e64 v13, s0, v20, v13, s0
	v_add_nc_u32_e32 v57, 0xdd, v124
	v_mov_b32_e32 v24, v27
	v_mad_u64_u32 v[27:28], null, s20, v31, 0
	v_add_co_u32 v14, s0, v0, v14
	v_lshlrev_b64 v[23:24], 3, v[23:24]
	v_add_co_ci_u32_e64 v15, s0, v20, v15, s0
	v_add_co_u32 v21, s0, v0, v21
	v_mad_u64_u32 v[29:30], null, s21, v29, v[26:27]
	v_add_co_ci_u32_e64 v22, s0, v20, v22, s0
	v_add_co_u32 v23, s0, v0, v23
	v_add_co_ci_u32_e64 v24, s0, v20, v24, s0
	v_mov_b32_e32 v26, v29
	v_mad_u64_u32 v[29:30], null, s20, v33, 0
	v_add_nc_u32_e32 v60, 0x132, v124
	v_add_nc_u32_e32 v63, 0x187, v124
	v_lshlrev_b64 v[25:26], 3, v[25:26]
	v_add_nc_u32_e32 v64, 0x1dc, v124
	v_add_nc_u32_e32 v67, 0x231, v124
	;; [unrolled: 1-line block ×3, first 2 shown]
	v_mad_u64_u32 v[31:32], null, s21, v31, v[28:29]
	v_add_co_u32 v25, s0, v0, v25
	v_add_co_ci_u32_e64 v26, s0, v20, v26, s0
	v_mad_u64_u32 v[58:59], null, s20, v63, 0
	v_mov_b32_e32 v28, v31
	v_mad_u64_u32 v[31:32], null, s20, v35, 0
	v_add_nc_u32_e32 v71, 0x99, v124
	v_add_nc_u32_e32 v72, 0xee, v124
	v_lshlrev_b64 v[27:28], 3, v[27:28]
	v_add_nc_u32_e32 v75, 0x143, v124
	v_add_nc_u32_e32 v76, 0x198, v124
	v_mad_u64_u32 v[65:66], null, s20, v71, 0
	v_mad_u64_u32 v[33:34], null, s21, v33, v[30:31]
	v_add_co_u32 v27, s0, v0, v27
	v_add_co_ci_u32_e64 v28, s0, v20, v28, s0
	v_mad_u64_u32 v[73:74], null, s20, v76, 0
	v_mov_b32_e32 v30, v33
	v_mad_u64_u32 v[33:34], null, s20, v37, 0
	v_add_nc_u32_e32 v79, 0x1ed, v124
	v_add_nc_u32_e32 v80, 0x242, v124
	v_lshlrev_b64 v[29:30], 3, v[29:30]
	v_mad_u64_u32 v[35:36], null, s21, v35, v[32:33]
	v_add_co_u32 v29, s0, v0, v29
	v_add_co_ci_u32_e64 v30, s0, v20, v30, s0
	v_mad_u64_u32 v[77:78], null, s20, v80, 0
	v_mov_b32_e32 v32, v35
	v_mad_u64_u32 v[35:36], null, s20, v128, 0
	v_lshlrev_b64 v[31:32], 3, v[31:32]
	v_mad_u64_u32 v[37:38], null, s21, v37, v[34:35]
	v_add_co_u32 v31, s0, v0, v31
	v_add_co_ci_u32_e64 v32, s0, v20, v32, s0
	v_mov_b32_e32 v34, v37
	v_mad_u64_u32 v[37:38], null, s20, v41, 0
	v_lshlrev_b64 v[33:34], 3, v[33:34]
	v_mad_u64_u32 v[39:40], null, s21, v128, v[36:37]
	v_add_co_u32 v33, s0, v0, v33
	v_add_co_ci_u32_e64 v34, s0, v20, v34, s0
	;; [unrolled: 6-line block ×8, first 2 shown]
	v_mov_b32_e32 v48, v51
	v_mad_u64_u32 v[51:52], null, s20, v56, 0
	v_lshlrev_b64 v[47:48], 3, v[47:48]
	v_mad_u64_u32 v[53:54], null, s21, v129, v[50:51]
	v_mad_u64_u32 v[54:55], null, s20, v57, 0
	v_add_co_u32 v47, s0, v0, v47
	v_add_co_ci_u32_e64 v48, s0, v20, v48, s0
	v_mov_b32_e32 v50, v53
	v_mad_u64_u32 v[52:53], null, s21, v56, v[52:53]
	v_mov_b32_e32 v53, v55
	v_lshlrev_b64 v[49:50], 3, v[49:50]
	v_mad_u64_u32 v[55:56], null, s21, v57, v[53:54]
	v_mad_u64_u32 v[56:57], null, s20, v60, 0
	v_lshlrev_b64 v[51:52], 3, v[51:52]
	v_add_co_u32 v49, s0, v0, v49
	v_add_co_ci_u32_e64 v50, s0, v20, v50, s0
	v_mov_b32_e32 v53, v57
	v_add_co_u32 v51, s0, v0, v51
	v_add_co_ci_u32_e64 v52, s0, v20, v52, s0
	v_mad_u64_u32 v[60:61], null, s21, v60, v[53:54]
	v_mad_u64_u32 v[61:62], null, s20, v64, 0
	v_lshlrev_b64 v[54:55], 3, v[54:55]
	v_mov_b32_e32 v53, v59
	v_mov_b32_e32 v57, v60
	;; [unrolled: 1-line block ×3, first 2 shown]
	v_mad_u64_u32 v[62:63], null, s21, v63, v[53:54]
	v_lshlrev_b64 v[56:57], 3, v[56:57]
	v_add_co_u32 v53, s0, v0, v54
	v_mad_u64_u32 v[63:64], null, s21, v64, v[59:60]
	v_add_co_ci_u32_e64 v54, s0, v20, v55, s0
	v_mov_b32_e32 v59, v62
	v_add_co_u32 v55, s0, v0, v56
	v_add_co_ci_u32_e64 v56, s0, v20, v57, s0
	v_mov_b32_e32 v62, v63
	v_lshlrev_b64 v[57:58], 3, v[58:59]
	v_mad_u64_u32 v[59:60], null, s20, v67, 0
	v_mad_u64_u32 v[63:64], null, s20, v130, 0
	v_lshlrev_b64 v[61:62], 3, v[61:62]
	v_add_co_u32 v57, s0, v0, v57
	v_add_co_ci_u32_e64 v58, s0, v20, v58, s0
	v_mad_u64_u32 v[67:68], null, s21, v67, v[60:61]
	v_mad_u64_u32 v[68:69], null, s21, v130, v[64:65]
	;; [unrolled: 1-line block ×3, first 2 shown]
	v_mov_b32_e32 v64, v66
	v_add_co_u32 v61, s0, v0, v61
	v_mov_b32_e32 v60, v67
	v_add_co_ci_u32_e64 v62, s0, v20, v62, s0
	v_mad_u64_u32 v[66:67], null, s21, v71, v[64:65]
	v_mov_b32_e32 v67, v70
	v_mov_b32_e32 v64, v68
	v_lshlrev_b64 v[59:60], 3, v[59:60]
	v_mad_u64_u32 v[67:68], null, s21, v72, v[67:68]
	v_mad_u64_u32 v[71:72], null, s20, v75, 0
	v_lshlrev_b64 v[63:64], 3, v[63:64]
	v_add_co_u32 v59, s0, v0, v59
	v_mov_b32_e32 v68, v74
	v_mov_b32_e32 v70, v67
	v_add_co_ci_u32_e64 v60, s0, v20, v60, s0
	v_mov_b32_e32 v67, v72
	v_add_co_u32 v126, s0, v0, v63
	v_add_co_ci_u32_e64 v127, s0, v20, v64, s0
	v_lshlrev_b64 v[63:64], 3, v[69:70]
	v_mad_u64_u32 v[69:70], null, s21, v75, v[67:68]
	v_lshlrev_b64 v[65:66], 3, v[65:66]
	v_mad_u64_u32 v[67:68], null, s21, v76, v[68:69]
	v_mad_u64_u32 v[75:76], null, s20, v79, 0
	v_add_co_u32 v68, s0, v0, v65
	v_mov_b32_e32 v72, v69
	v_add_co_ci_u32_e64 v69, s0, v20, v66, s0
	v_mov_b32_e32 v66, v78
	v_mov_b32_e32 v65, v76
	;; [unrolled: 1-line block ×3, first 2 shown]
	v_lshlrev_b64 v[70:71], 3, v[71:72]
	v_mad_u64_u32 v[78:79], null, s21, v79, v[65:66]
	v_mad_u64_u32 v[65:66], null, s21, v80, v[66:67]
	v_add_co_u32 v66, s0, v0, v63
	v_add_co_ci_u32_e64 v67, s0, v20, v64, s0
	v_lshlrev_b64 v[63:64], 3, v[73:74]
	v_mov_b32_e32 v76, v78
	v_add_co_u32 v131, s0, v0, v70
	v_mov_b32_e32 v78, v65
	v_add_co_ci_u32_e64 v132, s0, v20, v71, s0
	v_lshlrev_b64 v[70:71], 3, v[75:76]
	v_add_co_u32 v133, s0, v0, v63
	v_add_co_ci_u32_e64 v134, s0, v20, v64, s0
	v_lshlrev_b64 v[63:64], 3, v[77:78]
	v_add_co_u32 v135, s0, v0, v70
	v_add_co_ci_u32_e64 v136, s0, v20, v71, s0
	v_add_co_u32 v137, s0, v0, v63
	v_add_co_ci_u32_e64 v138, s0, v20, v64, s0
	s_clause 0x22
	global_load_dwordx2 v[106:107], v[2:3], off
	global_load_dwordx2 v[104:105], v[4:5], off
	;; [unrolled: 1-line block ×35, first 2 shown]
.LBB0_12:
	s_or_b32 exec_lo, exec_lo, s1
	s_waitcnt vmcnt(28)
	v_add_f32_e32 v2, v122, v104
	v_add_f32_e32 v3, v120, v114
	v_sub_f32_e32 v4, v105, v123
	v_sub_f32_e32 v5, v115, v121
	v_add_f32_e32 v6, v118, v116
	v_sub_f32_e32 v7, v117, v119
	v_add_f32_e32 v8, v2, v3
	v_sub_f32_e32 v9, v3, v2
	v_mul_hi_u32 v0, 0xaaaaaaab, v1
	v_sub_f32_e32 v2, v2, v6
	v_sub_f32_e32 v3, v6, v3
	v_add_f32_e32 v10, v5, v7
	v_add_f32_e32 v6, v8, v6
	v_sub_f32_e32 v8, v7, v5
	v_sub_f32_e32 v5, v5, v4
	;; [unrolled: 1-line block ×3, first 2 shown]
	v_add_f32_e32 v4, v4, v10
	v_add_f32_e32 v10, v6, v106
	v_mul_f32_e32 v3, 0x3d64c772, v3
	v_mul_f32_e32 v11, 0x3f4a47b2, v2
	;; [unrolled: 1-line block ×4, first 2 shown]
	v_lshrrev_b32_e32 v0, 1, v0
	v_fmamk_f32 v6, v6, 0xbf955555, v10
	v_fmamk_f32 v2, v2, 0x3f4a47b2, v3
	v_fma_f32 v3, 0x3f3bfb3b, v9, -v3
	v_fma_f32 v9, 0xbf3bfb3b, v9, -v11
	v_fmamk_f32 v11, v7, 0x3eae86e6, v8
	v_fma_f32 v5, 0x3f5ff5aa, v5, -v8
	v_fma_f32 v7, 0xbeae86e6, v7, -v12
	v_lshl_add_u32 v0, v0, 1, v0
	v_add_f32_e32 v2, v2, v6
	v_add_f32_e32 v3, v3, v6
	;; [unrolled: 1-line block ×3, first 2 shown]
	v_fmac_f32_e32 v7, 0x3ee1c552, v4
	v_fmac_f32_e32 v5, 0x3ee1c552, v4
	;; [unrolled: 1-line block ×3, first 2 shown]
	v_sub_nc_u32_e32 v0, v1, v0
	s_waitcnt vmcnt(21)
	v_add_f32_e32 v1, v112, v100
	v_add_f32_e32 v8, v6, v7
	v_sub_f32_e32 v9, v3, v5
	v_add_f32_e32 v3, v3, v5
	v_sub_f32_e32 v5, v6, v7
	v_add_f32_e32 v6, v110, v98
	v_add_f32_e32 v4, v2, v11
	v_sub_f32_e32 v2, v2, v11
	v_add_f32_e32 v11, v108, v102
	v_sub_f32_e32 v12, v99, v111
	v_sub_f32_e32 v13, v103, v109
	v_add_f32_e32 v14, v1, v6
	v_sub_f32_e32 v7, v101, v113
	v_sub_f32_e32 v15, v6, v1
	v_sub_f32_e32 v1, v1, v11
	v_sub_f32_e32 v6, v11, v6
	v_add_f32_e32 v20, v12, v13
	v_add_f32_e32 v11, v14, v11
	v_sub_f32_e32 v14, v13, v12
	v_sub_f32_e32 v13, v7, v13
	v_mul_f32_e32 v6, 0x3d64c772, v6
	v_sub_f32_e32 v12, v12, v7
	v_add_f32_e32 v7, v7, v20
	v_mul_f32_e32 v20, 0x3f4a47b2, v1
	v_mul_f32_e32 v14, 0xbf08b237, v14
	v_add_f32_e32 v21, v11, v96
	v_mul_u32_u24_e32 v0, 0x253, v0
	v_fmamk_f32 v1, v1, 0x3f4a47b2, v6
	v_fma_f32 v6, 0x3f3bfb3b, v15, -v6
	v_fma_f32 v15, 0xbf3bfb3b, v15, -v20
	v_mul_f32_e32 v20, 0x3f5ff5aa, v12
	v_fmamk_f32 v11, v11, 0xbf955555, v21
	v_fma_f32 v12, 0x3f5ff5aa, v12, -v14
	v_lshlrev_b32_e32 v131, 2, v0
	v_fmamk_f32 v14, v13, 0x3eae86e6, v14
	v_fma_f32 v13, 0xbeae86e6, v13, -v20
	v_add_f32_e32 v0, v1, v11
	v_add_f32_e32 v1, v6, v11
	v_fmac_f32_e32 v12, 0x3ee1c552, v7
	v_add_nc_u32_e32 v133, 0, v131
	v_add_f32_e32 v6, v15, v11
	v_fmac_f32_e32 v13, 0x3ee1c552, v7
	v_fmac_f32_e32 v14, 0x3ee1c552, v7
	v_sub_f32_e32 v7, v1, v12
	v_add_f32_e32 v11, v1, v12
	v_mad_u32_u24 v1, v124, 28, v133
	v_add_f32_e32 v12, v6, v13
	v_sub_f32_e32 v6, v6, v13
	v_add_f32_e32 v13, v0, v14
	v_mad_i32_i24 v96, v125, 28, v133
	ds_write2_b32 v1, v10, v4 offset1:1
	s_waitcnt vmcnt(14)
	v_add_f32_e32 v4, v94, v86
	ds_write2_b32 v1, v8, v9 offset0:2 offset1:3
	v_add_f32_e32 v8, v92, v84
	v_sub_f32_e32 v10, v87, v95
	ds_write2_b32 v1, v3, v5 offset0:4 offset1:5
	v_sub_f32_e32 v3, v85, v93
	v_add_f32_e32 v5, v90, v88
	ds_write_b32 v1, v2 offset:24
	v_add_f32_e32 v2, v4, v8
	v_sub_f32_e32 v9, v89, v91
	v_sub_f32_e32 v0, v0, v14
	ds_write2_b32 v96, v21, v13 offset1:1
	v_sub_f32_e32 v13, v8, v4
	v_sub_f32_e32 v4, v4, v5
	;; [unrolled: 1-line block ×3, first 2 shown]
	v_add_f32_e32 v2, v2, v5
	v_add_f32_e32 v5, v3, v9
	v_sub_f32_e32 v14, v9, v3
	v_sub_f32_e32 v3, v3, v10
	v_sub_f32_e32 v9, v10, v9
	v_mul_f32_e32 v8, 0x3d64c772, v8
	v_add_f32_e32 v5, v10, v5
	v_mul_f32_e32 v10, 0x3f4a47b2, v4
	v_add_f32_e32 v15, v2, v82
	v_mul_f32_e32 v14, 0xbf08b237, v14
	v_mul_f32_e32 v20, 0x3f5ff5aa, v3
	v_fmamk_f32 v4, v4, 0x3f4a47b2, v8
	v_fma_f32 v8, 0x3f3bfb3b, v13, -v8
	v_fmamk_f32 v2, v2, 0xbf955555, v15
	v_fma_f32 v3, 0x3f5ff5aa, v3, -v14
	v_fma_f32 v10, 0xbf3bfb3b, v13, -v10
	;; [unrolled: 1-line block ×3, first 2 shown]
	v_fmamk_f32 v9, v9, 0x3eae86e6, v14
	v_add_f32_e32 v8, v8, v2
	v_fmac_f32_e32 v3, 0x3ee1c552, v5
	v_add_f32_e32 v10, v10, v2
	v_fmac_f32_e32 v13, 0x3ee1c552, v5
	v_add_f32_e32 v2, v4, v2
	v_fmac_f32_e32 v9, 0x3ee1c552, v5
	v_sub_f32_e32 v4, v8, v3
	v_add_f32_e32 v3, v8, v3
	v_add_f32_e32 v5, v10, v13
	v_sub_f32_e32 v8, v10, v13
	v_add_f32_e32 v10, v2, v9
	v_sub_f32_e32 v2, v2, v9
	s_waitcnt vmcnt(7)
	v_add_f32_e32 v9, v80, v72
	ds_write2_b32 v96, v12, v7 offset0:2 offset1:3
	v_add_f32_e32 v7, v78, v70
	v_mad_i32_i24 v82, v128, 28, v133
	ds_write2_b32 v96, v11, v6 offset0:4 offset1:5
	v_sub_f32_e32 v6, v71, v79
	v_add_f32_e32 v11, v76, v74
	ds_write_b32 v96, v0 offset:24
	v_add_f32_e32 v0, v9, v7
	ds_write2_b32 v82, v15, v10 offset1:1
	v_sub_f32_e32 v10, v75, v77
	v_sub_f32_e32 v13, v73, v81
	;; [unrolled: 1-line block ×5, first 2 shown]
	v_add_f32_e32 v0, v0, v11
	v_add_f32_e32 v11, v6, v10
	v_sub_f32_e32 v14, v10, v6
	v_sub_f32_e32 v6, v6, v13
	v_sub_f32_e32 v10, v13, v10
	v_mul_f32_e32 v7, 0x3d64c772, v7
	v_add_f32_e32 v11, v13, v11
	v_mul_f32_e32 v13, 0x3f4a47b2, v9
	v_add_f32_e32 v15, v0, v64
	v_mul_f32_e32 v14, 0xbf08b237, v14
	v_mul_f32_e32 v20, 0x3f5ff5aa, v6
	v_fmamk_f32 v9, v9, 0x3f4a47b2, v7
	v_fma_f32 v7, 0x3f3bfb3b, v12, -v7
	v_fmamk_f32 v0, v0, 0xbf955555, v15
	v_fma_f32 v12, 0xbf3bfb3b, v12, -v13
	;; [unrolled: 2-line block ×3, first 2 shown]
	v_fma_f32 v10, 0xbeae86e6, v10, -v20
	v_add_f32_e32 v9, v9, v0
	v_add_f32_e32 v7, v7, v0
	v_fmac_f32_e32 v13, 0x3ee1c552, v11
	v_fmac_f32_e32 v6, 0x3ee1c552, v11
	v_add_f32_e32 v0, v12, v0
	v_fmac_f32_e32 v10, 0x3ee1c552, v11
	ds_write2_b32 v82, v5, v4 offset0:2 offset1:3
	v_add_f32_e32 v4, v9, v13
	v_sub_f32_e32 v5, v7, v6
	v_add_f32_e32 v6, v7, v6
	v_add_f32_e32 v7, v0, v10
	ds_write2_b32 v82, v3, v8 offset0:4 offset1:5
	v_mad_i32_i24 v64, v129, 28, v133
	s_waitcnt vmcnt(0)
	v_add_f32_e32 v3, v62, v54
	v_add_f32_e32 v8, v60, v52
	v_sub_f32_e32 v0, v0, v10
	ds_write_b32 v82, v2 offset:24
	v_sub_f32_e32 v2, v53, v61
	ds_write2_b32 v64, v15, v4 offset1:1
	v_add_f32_e32 v4, v58, v56
	v_add_f32_e32 v10, v3, v8
	ds_write2_b32 v64, v7, v5 offset0:2 offset1:3
	v_sub_f32_e32 v5, v57, v59
	v_sub_f32_e32 v11, v55, v63
	;; [unrolled: 1-line block ×5, first 2 shown]
	v_add_f32_e32 v4, v10, v4
	v_add_f32_e32 v10, v2, v5
	v_sub_f32_e32 v12, v5, v2
	v_sub_f32_e32 v2, v2, v11
	;; [unrolled: 1-line block ×3, first 2 shown]
	v_mul_f32_e32 v8, 0x3d64c772, v8
	v_add_f32_e32 v10, v11, v10
	v_mul_f32_e32 v11, 0x3f4a47b2, v3
	v_add_f32_e32 v14, v4, v50
	v_mul_f32_e32 v12, 0xbf08b237, v12
	v_mul_f32_e32 v15, 0x3f5ff5aa, v2
	v_fmamk_f32 v3, v3, 0x3f4a47b2, v8
	v_fma_f32 v8, 0x3f3bfb3b, v7, -v8
	v_fmamk_f32 v4, v4, 0xbf955555, v14
	v_fma_f32 v7, 0xbf3bfb3b, v7, -v11
	;; [unrolled: 2-line block ×3, first 2 shown]
	v_fma_f32 v5, 0xbeae86e6, v5, -v15
	v_add_f32_e32 v3, v3, v4
	v_lshlrev_b32_e32 v20, 2, v124
	v_fmac_f32_e32 v11, 0x3ee1c552, v10
	v_add_f32_e32 v8, v8, v4
	v_add_f32_e32 v4, v7, v4
	v_fmac_f32_e32 v2, 0x3ee1c552, v10
	v_fmac_f32_e32 v5, 0x3ee1c552, v10
	v_sub_f32_e32 v7, v9, v13
	v_add_f32_e32 v9, v3, v11
	v_mad_i32_i24 v134, v130, 28, v133
	v_add3_u32 v126, 0, v20, v131
	v_add_nc_u32_e32 v106, v133, v20
	ds_write2_b32 v64, v6, v0 offset0:4 offset1:5
	v_add_f32_e32 v0, v4, v5
	v_sub_f32_e32 v6, v8, v2
	v_lshl_add_u32 v127, v125, 2, v133
	v_add_f32_e32 v8, v8, v2
	v_sub_f32_e32 v4, v4, v5
	v_sub_f32_e32 v2, v3, v11
	s_load_dwordx2 s[4:5], s[4:5], 0x0
	ds_write_b32 v64, v7 offset:24
	ds_write2_b32 v134, v14, v9 offset1:1
	ds_write2_b32 v134, v0, v6 offset0:2 offset1:3
	ds_write2_b32 v134, v8, v4 offset0:4 offset1:5
	ds_write_b32 v134, v2 offset:24
	s_waitcnt lgkmcnt(0)
	s_barrier
	buffer_gl0_inv
	v_add_nc_u32_e32 v137, 0x200, v126
	v_add_nc_u32_e32 v136, 0x400, v126
	v_add_nc_u32_e32 v135, 0x800, v126
	ds_read_b32 v142, v106
	ds_read_b32 v132, v127
	ds_read2_b32 v[68:69], v126 offset0:35 offset1:52
	ds_read2_b32 v[66:67], v126 offset0:70 offset1:87
	;; [unrolled: 1-line block ×16, first 2 shown]
	v_cmp_eq_u32_e64 s0, 0, v124
                                        ; implicit-def: $vgpr143
                                        ; implicit-def: $vgpr12
                                        ; implicit-def: $vgpr10
                                        ; implicit-def: $vgpr23
                                        ; implicit-def: $vgpr21
                                        ; implicit-def: $vgpr9
                                        ; implicit-def: $vgpr15
                                        ; implicit-def: $vgpr26
	s_and_saveexec_b32 s1, s0
	s_cbranch_execz .LBB0_14
; %bb.13:
	v_add_nc_u32_e32 v0, 0x200, v133
	v_add_nc_u32_e32 v8, 0x400, v133
	;; [unrolled: 1-line block ×3, first 2 shown]
	ds_read2_b32 v[2:3], v133 offset0:34 offset1:69
	ds_read2_b32 v[12:13], v133 offset0:104 offset1:139
	;; [unrolled: 1-line block ×8, first 2 shown]
	ds_read_b32 v143, v133 offset:2376
.LBB0_14:
	s_or_b32 exec_lo, exec_lo, s1
	v_add_f32_e32 v0, v123, v105
	v_add_f32_e32 v105, v121, v115
	;; [unrolled: 1-line block ×3, first 2 shown]
	v_sub_f32_e32 v114, v114, v120
	v_sub_f32_e32 v116, v116, v118
	;; [unrolled: 1-line block ×3, first 2 shown]
	v_add_f32_e32 v117, v0, v105
	v_sub_f32_e32 v118, v105, v0
	v_sub_f32_e32 v0, v0, v115
	;; [unrolled: 1-line block ×3, first 2 shown]
	v_add_f32_e32 v119, v114, v116
	v_add_f32_e32 v115, v117, v115
	v_sub_f32_e32 v117, v116, v114
	v_add_f32_e32 v101, v113, v101
	v_add_f32_e32 v99, v111, v99
	v_sub_f32_e32 v116, v104, v116
	v_sub_f32_e32 v114, v114, v104
	v_add_f32_e32 v104, v104, v119
	v_add_f32_e32 v107, v115, v107
	v_mul_f32_e32 v105, 0x3d64c772, v105
	v_mul_f32_e32 v119, 0x3f4a47b2, v0
	;; [unrolled: 1-line block ×3, first 2 shown]
	v_add_f32_e32 v103, v109, v103
	v_sub_f32_e32 v98, v98, v110
	v_sub_f32_e32 v102, v102, v108
	v_add_f32_e32 v108, v101, v99
	v_mul_f32_e32 v120, 0x3f5ff5aa, v114
	v_fmamk_f32 v115, v115, 0xbf955555, v107
	v_fmamk_f32 v0, v0, 0x3f4a47b2, v105
	v_fma_f32 v105, 0x3f3bfb3b, v118, -v105
	v_fma_f32 v118, 0xbf3bfb3b, v118, -v119
	v_fmamk_f32 v119, v116, 0x3eae86e6, v117
	v_sub_f32_e32 v100, v100, v112
	v_sub_f32_e32 v109, v99, v101
	;; [unrolled: 1-line block ×4, first 2 shown]
	v_add_f32_e32 v110, v98, v102
	v_add_f32_e32 v103, v108, v103
	v_sub_f32_e32 v108, v102, v98
	v_fma_f32 v114, 0x3f5ff5aa, v114, -v117
	v_fma_f32 v116, 0xbeae86e6, v116, -v120
	v_add_f32_e32 v0, v0, v115
	v_fmac_f32_e32 v119, 0x3ee1c552, v104
	v_sub_f32_e32 v102, v100, v102
	v_sub_f32_e32 v98, v98, v100
	v_add_f32_e32 v100, v100, v110
	v_mul_f32_e32 v99, 0x3d64c772, v99
	v_mul_f32_e32 v110, 0x3f4a47b2, v101
	;; [unrolled: 1-line block ×3, first 2 shown]
	v_fmac_f32_e32 v116, 0x3ee1c552, v104
	v_fmac_f32_e32 v114, 0x3ee1c552, v104
	v_sub_f32_e32 v104, v0, v119
	v_mul_f32_e32 v111, 0x3f5ff5aa, v98
	v_fmamk_f32 v101, v101, 0x3f4a47b2, v99
	v_fma_f32 v99, 0x3f3bfb3b, v109, -v99
	v_fma_f32 v109, 0xbf3bfb3b, v109, -v110
	v_fmamk_f32 v110, v102, 0x3eae86e6, v108
	v_fma_f32 v98, 0x3f5ff5aa, v98, -v108
	v_add_f32_e32 v108, v119, v0
	v_add_f32_e32 v0, v95, v87
	;; [unrolled: 1-line block ×4, first 2 shown]
	v_sub_f32_e32 v84, v84, v92
	v_sub_f32_e32 v88, v88, v90
	;; [unrolled: 1-line block ×3, first 2 shown]
	v_add_f32_e32 v89, v0, v85
	v_sub_f32_e32 v90, v85, v0
	v_sub_f32_e32 v0, v0, v87
	v_sub_f32_e32 v85, v87, v85
	v_add_f32_e32 v91, v84, v88
	v_add_f32_e32 v87, v89, v87
	v_sub_f32_e32 v89, v88, v84
	v_add_f32_e32 v73, v81, v73
	v_add_f32_e32 v71, v79, v71
	v_sub_f32_e32 v88, v86, v88
	v_sub_f32_e32 v84, v84, v86
	v_add_f32_e32 v86, v86, v91
	v_add_f32_e32 v83, v87, v83
	v_mul_f32_e32 v85, 0x3d64c772, v85
	v_mul_f32_e32 v91, 0x3f4a47b2, v0
	;; [unrolled: 1-line block ×3, first 2 shown]
	v_add_f32_e32 v75, v77, v75
	v_sub_f32_e32 v70, v70, v78
	v_sub_f32_e32 v74, v74, v76
	v_add_f32_e32 v76, v73, v71
	v_fmamk_f32 v87, v87, 0xbf955555, v83
	v_fmamk_f32 v0, v0, 0x3f4a47b2, v85
	v_fma_f32 v85, 0x3f3bfb3b, v90, -v85
	v_fma_f32 v90, 0xbf3bfb3b, v90, -v91
	v_fmamk_f32 v91, v88, 0x3eae86e6, v89
	v_sub_f32_e32 v72, v72, v80
	v_sub_f32_e32 v77, v71, v73
	v_sub_f32_e32 v73, v73, v75
	v_sub_f32_e32 v71, v75, v71
	v_add_f32_e32 v78, v70, v74
	v_add_f32_e32 v75, v76, v75
	v_sub_f32_e32 v76, v74, v70
	v_add_f32_e32 v0, v0, v87
	v_fmac_f32_e32 v91, 0x3ee1c552, v86
	v_sub_f32_e32 v74, v72, v74
	v_sub_f32_e32 v70, v70, v72
	v_add_f32_e32 v72, v72, v78
	v_mul_f32_e32 v71, 0x3d64c772, v71
	v_mul_f32_e32 v78, 0x3f4a47b2, v73
	;; [unrolled: 1-line block ×3, first 2 shown]
	v_add_f32_e32 v85, v85, v87
	v_add_f32_e32 v87, v90, v87
	v_sub_f32_e32 v90, v0, v91
	v_mul_f32_e32 v79, 0x3f5ff5aa, v70
	v_fmamk_f32 v73, v73, 0x3f4a47b2, v71
	v_fma_f32 v71, 0x3f3bfb3b, v77, -v71
	v_fma_f32 v77, 0xbf3bfb3b, v77, -v78
	v_fmamk_f32 v78, v74, 0x3eae86e6, v76
	v_fma_f32 v70, 0x3f5ff5aa, v70, -v76
	v_add_f32_e32 v76, v91, v0
	v_add_f32_e32 v0, v63, v55
	;; [unrolled: 1-line block ×3, first 2 shown]
	v_sub_f32_e32 v54, v54, v62
	v_add_f32_e32 v55, v59, v57
	v_sub_f32_e32 v52, v52, v60
	v_sub_f32_e32 v56, v56, v58
	v_add_f32_e32 v57, v0, v53
	v_sub_f32_e32 v58, v53, v0
	v_sub_f32_e32 v0, v0, v55
	;; [unrolled: 1-line block ×3, first 2 shown]
	v_add_f32_e32 v59, v52, v56
	v_add_f32_e32 v55, v57, v55
	v_sub_f32_e32 v57, v56, v52
	v_sub_f32_e32 v52, v52, v54
	v_add_f32_e32 v97, v103, v97
	v_mul_f32_e32 v92, 0x3f5ff5aa, v84
	v_add_f32_e32 v65, v75, v65
	v_sub_f32_e32 v56, v54, v56
	v_add_f32_e32 v54, v54, v59
	v_add_f32_e32 v51, v55, v51
	v_mul_f32_e32 v53, 0x3d64c772, v53
	v_mul_f32_e32 v59, 0x3f4a47b2, v0
	;; [unrolled: 1-line block ×4, first 2 shown]
	v_fmamk_f32 v103, v103, 0xbf955555, v97
	v_fma_f32 v102, 0xbeae86e6, v102, -v111
	v_fma_f32 v84, 0x3f5ff5aa, v84, -v89
	;; [unrolled: 1-line block ×3, first 2 shown]
	v_fmamk_f32 v75, v75, 0xbf955555, v65
	v_fma_f32 v74, 0xbeae86e6, v74, -v79
	v_fmamk_f32 v55, v55, 0xbf955555, v51
	v_fmamk_f32 v0, v0, 0x3f4a47b2, v53
	v_fma_f32 v53, 0x3f3bfb3b, v58, -v53
	v_fma_f32 v58, 0xbf3bfb3b, v58, -v59
	v_fmamk_f32 v59, v56, 0x3eae86e6, v57
	v_fma_f32 v52, 0x3f5ff5aa, v52, -v57
	v_fma_f32 v56, 0xbeae86e6, v56, -v60
	v_add_f32_e32 v105, v105, v115
	v_add_f32_e32 v115, v118, v115
	;; [unrolled: 1-line block ×5, first 2 shown]
	v_fmac_f32_e32 v110, 0x3ee1c552, v100
	v_fmac_f32_e32 v102, 0x3ee1c552, v100
	;; [unrolled: 1-line block ×5, first 2 shown]
	v_add_f32_e32 v73, v73, v75
	v_add_f32_e32 v71, v71, v75
	;; [unrolled: 1-line block ×3, first 2 shown]
	v_fmac_f32_e32 v78, 0x3ee1c552, v72
	v_fmac_f32_e32 v74, 0x3ee1c552, v72
	;; [unrolled: 1-line block ×3, first 2 shown]
	v_add_f32_e32 v0, v0, v55
	v_add_f32_e32 v53, v53, v55
	;; [unrolled: 1-line block ×3, first 2 shown]
	v_fmac_f32_e32 v56, 0x3ee1c552, v54
	v_fmac_f32_e32 v52, 0x3ee1c552, v54
	;; [unrolled: 1-line block ×3, first 2 shown]
	v_sub_f32_e32 v117, v115, v116
	v_add_f32_e32 v118, v114, v105
	v_sub_f32_e32 v105, v105, v114
	v_add_f32_e32 v100, v116, v115
	;; [unrolled: 2-line block ×4, first 2 shown]
	v_add_f32_e32 v89, v110, v101
	v_sub_f32_e32 v92, v87, v88
	v_add_f32_e32 v93, v84, v85
	v_sub_f32_e32 v84, v85, v84
	v_sub_f32_e32 v77, v73, v78
	;; [unrolled: 1-line block ×3, first 2 shown]
	v_add_f32_e32 v80, v70, v71
	v_add_f32_e32 v54, v74, v75
	;; [unrolled: 1-line block ×3, first 2 shown]
	v_sub_f32_e32 v52, v53, v52
	v_add_f32_e32 v53, v56, v55
	v_sub_f32_e32 v111, v103, v102
	v_add_f32_e32 v72, v88, v87
	;; [unrolled: 2-line block ×3, first 2 shown]
	v_sub_f32_e32 v58, v0, v59
	v_sub_f32_e32 v60, v55, v56
	v_add_f32_e32 v0, v59, v0
	s_waitcnt lgkmcnt(0)
	s_barrier
	buffer_gl0_inv
	ds_write2_b32 v1, v107, v104 offset1:1
	ds_write2_b32 v1, v117, v118 offset0:2 offset1:3
	ds_write2_b32 v1, v105, v100 offset0:4 offset1:5
	ds_write_b32 v1, v108 offset:24
	ds_write2_b32 v96, v97, v109 offset1:1
	ds_write2_b32 v96, v111, v112 offset0:2 offset1:3
	ds_write2_b32 v96, v98, v86 offset0:4 offset1:5
	ds_write_b32 v96, v89 offset:24
	;; [unrolled: 4-line block ×5, first 2 shown]
	s_waitcnt lgkmcnt(0)
	s_barrier
	buffer_gl0_inv
	ds_read2_b32 v[100:101], v126 offset0:35 offset1:52
	ds_read2_b32 v[98:99], v126 offset0:70 offset1:87
	;; [unrolled: 1-line block ×16, first 2 shown]
	ds_read_b32 v104, v106
	ds_read_b32 v102, v127
                                        ; implicit-def: $vgpr57
                                        ; implicit-def: $vgpr55
                                        ; implicit-def: $vgpr70
                                        ; implicit-def: $vgpr63
                                        ; implicit-def: $vgpr144
                                        ; implicit-def: $vgpr60
                                        ; implicit-def: $vgpr62
                                        ; implicit-def: $vgpr73
	s_and_saveexec_b32 s1, s0
	s_cbranch_execz .LBB0_16
; %bb.15:
	v_add_nc_u32_e32 v59, 0x200, v133
	v_add_nc_u32_e32 v60, 0x400, v133
	v_add_nc_u32_e32 v65, 0x800, v133
	ds_read2_b32 v[0:1], v133 offset0:34 offset1:69
	ds_read2_b32 v[57:58], v133 offset0:104 offset1:139
	;; [unrolled: 1-line block ×8, first 2 shown]
	ds_read_b32 v144, v133 offset:2376
.LBB0_16:
	s_or_b32 exec_lo, exec_lo, s1
	v_and_b32_e32 v65, 0xff, v124
	v_and_b32_e32 v103, 0xff, v125
	v_mul_lo_u16 v65, v65, 37
	v_mul_lo_u16 v103, v103, 37
	v_lshrrev_b16 v65, 8, v65
	v_lshrrev_b16 v103, 8, v103
	v_sub_nc_u16 v105, v124, v65
	v_sub_nc_u16 v107, v125, v103
	v_lshrrev_b16 v105, 1, v105
	v_lshrrev_b16 v107, 1, v107
	v_and_b32_e32 v105, 0x7f, v105
	v_and_b32_e32 v107, 0x7f, v107
	v_add_nc_u16 v65, v105, v65
	v_add_nc_u16 v103, v107, v103
	v_lshrrev_b16 v141, 2, v65
	v_lshrrev_b16 v139, 2, v103
	v_mov_b32_e32 v103, 7
	v_mul_lo_u16 v65, v141, 7
	v_mul_lo_u16 v105, v139, 7
	v_and_b32_e32 v139, 0xffff, v139
	v_sub_nc_u16 v140, v124, v65
	v_sub_nc_u16 v138, v125, v105
	v_and_b32_e32 v65, 0xff, v128
	v_mad_u32_u24 v139, 0x1dc, v139, 0
	v_lshlrev_b32_sdwa v105, v103, v140 dst_sel:DWORD dst_unused:UNUSED_PAD src0_sel:DWORD src1_sel:BYTE_0
	v_lshlrev_b32_sdwa v115, v103, v138 dst_sel:DWORD dst_unused:UNUSED_PAD src0_sel:DWORD src1_sel:BYTE_0
	v_mul_lo_u16 v65, v65, 37
	s_clause 0x7
	global_load_dwordx4 v[107:110], v105, s[12:13]
	global_load_dwordx4 v[111:114], v115, s[12:13]
	global_load_dwordx4 v[133:136], v105, s[12:13] offset:16
	global_load_dwordx4 v[145:148], v115, s[12:13] offset:16
	;; [unrolled: 1-line block ×6, first 2 shown]
	v_lshrrev_b16 v65, 8, v65
	s_clause 0x3
	global_load_dwordx4 v[161:164], v115, s[12:13] offset:48
	global_load_dwordx4 v[185:188], v105, s[12:13] offset:112
	;; [unrolled: 1-line block ×4, first 2 shown]
	v_sub_nc_u16 v116, v128, v65
	s_clause 0x3
	global_load_dwordx4 v[169:172], v115, s[12:13] offset:64
	global_load_dwordx4 v[177:180], v115, s[12:13] offset:80
	;; [unrolled: 1-line block ×4, first 2 shown]
	v_lshrrev_b16 v116, 1, v116
	v_and_b32_e32 v116, 0x7f, v116
	v_add_nc_u16 v65, v116, v65
	v_lshrrev_b16 v65, 2, v65
	v_mul_lo_u16 v65, v65, 7
	v_sub_nc_u16 v65, v128, v65
	v_lshlrev_b32_sdwa v116, v103, v65 dst_sel:DWORD dst_unused:UNUSED_PAD src0_sel:DWORD src1_sel:BYTE_0
	s_clause 0x5
	global_load_dwordx4 v[197:200], v116, s[12:13]
	global_load_dwordx4 v[201:204], v116, s[12:13] offset:16
	global_load_dwordx4 v[205:208], v116, s[12:13] offset:32
	;; [unrolled: 1-line block ×5, first 2 shown]
	s_waitcnt vmcnt(21) lgkmcnt(17)
	v_mul_f32_e32 v105, v100, v108
	v_mul_f32_e32 v120, v68, v108
	s_waitcnt lgkmcnt(16)
	v_mul_f32_e32 v108, v98, v110
	v_mul_f32_e32 v117, v66, v110
	s_waitcnt vmcnt(20)
	v_mul_f32_e32 v110, v101, v112
	v_mul_f32_e32 v103, v69, v112
	;; [unrolled: 1-line block ×3, first 2 shown]
	v_fmac_f32_e32 v120, v100, v107
	v_fma_f32 v118, v66, v109, -v108
	v_mul_f32_e32 v100, v67, v114
	v_fmac_f32_e32 v103, v101, v111
	v_fma_f32 v101, v67, v113, -v112
	s_waitcnt vmcnt(19) lgkmcnt(15)
	v_mul_f32_e32 v66, v96, v134
	s_waitcnt lgkmcnt(14)
	v_mul_f32_e32 v67, v94, v136
	v_fma_f32 v121, v68, v107, -v105
	v_fmac_f32_e32 v117, v98, v109
	v_mul_f32_e32 v114, v49, v134
	v_mul_f32_e32 v108, v47, v136
	s_waitcnt vmcnt(18)
	v_mul_f32_e32 v68, v97, v146
	v_mul_f32_e32 v98, v50, v146
	v_fma_f32 v115, v49, v133, -v66
	v_fma_f32 v109, v47, v135, -v67
	v_mul_f32_e32 v49, v95, v148
	v_mul_f32_e32 v47, v48, v148
	v_fma_f32 v105, v69, v111, -v110
	v_fmac_f32_e32 v108, v94, v135
	v_fma_f32 v94, v50, v145, -v68
	v_fmac_f32_e32 v98, v97, v145
	;; [unrolled: 2-line block ×3, first 2 shown]
	s_waitcnt vmcnt(17) lgkmcnt(13)
	v_mul_f32_e32 v48, v92, v150
	v_mul_f32_e32 v111, v45, v150
	s_waitcnt lgkmcnt(12)
	v_mul_f32_e32 v66, v90, v152
	v_mul_f32_e32 v97, v43, v152
	global_load_dwordx4 v[145:148], v116, s[12:13] offset:96
	v_fma_f32 v112, v45, v149, -v48
	v_fmac_f32_e32 v111, v92, v149
	v_fma_f32 v107, v43, v151, -v66
	v_fmac_f32_e32 v97, v90, v151
	global_load_dwordx4 v[149:152], v116, s[12:13] offset:112
	s_waitcnt vmcnt(18)
	v_mul_f32_e32 v45, v44, v156
	v_mul_f32_e32 v67, v93, v154
	;; [unrolled: 1-line block ×4, first 2 shown]
	s_waitcnt vmcnt(17) lgkmcnt(10)
	v_mul_f32_e32 v48, v86, v160
	v_fmac_f32_e32 v45, v91, v155
	v_mul_f32_e32 v91, v39, v160
	v_fma_f32 v90, v46, v153, -v67
	v_fmac_f32_e32 v50, v93, v153
	v_fma_f32 v46, v44, v155, -v43
	v_mul_f32_e32 v44, v88, v158
	v_mul_f32_e32 v93, v41, v158
	s_waitcnt vmcnt(15)
	v_mul_f32_e32 v66, v89, v162
	v_fmac_f32_e32 v91, v86, v159
	s_waitcnt vmcnt(11) lgkmcnt(8)
	v_mul_f32_e32 v86, v83, v172
	v_fmac_f32_e32 v114, v96, v133
	v_mul_f32_e32 v43, v42, v162
	v_mul_f32_e32 v67, v87, v164
	v_fma_f32 v95, v41, v157, -v44
	v_fmac_f32_e32 v93, v88, v157
	v_fma_f32 v88, v39, v159, -v48
	v_mul_f32_e32 v39, v40, v164
	v_mul_f32_e32 v68, v84, v166
	;; [unrolled: 1-line block ×4, first 2 shown]
	v_fma_f32 v42, v42, v161, -v66
	v_mul_f32_e32 v96, v35, v168
	v_mul_f32_e32 v66, v85, v170
	;; [unrolled: 1-line block ×7, first 2 shown]
	v_fma_f32 v36, v36, v171, -v86
	v_mul_f32_e32 v133, v4, v188
	s_waitcnt vmcnt(9) lgkmcnt(4)
	v_mul_f32_e32 v154, v75, v192
	v_mul_f32_e32 v86, v28, v192
	v_fmac_f32_e32 v100, v99, v113
	v_fmac_f32_e32 v43, v89, v161
	v_fma_f32 v40, v40, v163, -v67
	v_mul_f32_e32 v67, v80, v174
	v_fmac_f32_e32 v39, v87, v163
	v_mul_f32_e32 v110, v33, v174
	v_mul_f32_e32 v119, v78, v176
	;; [unrolled: 1-line block ×6, first 2 shown]
	v_fma_f32 v89, v37, v165, -v68
	v_fmac_f32_e32 v92, v84, v165
	v_fma_f32 v99, v35, v167, -v69
	v_fmac_f32_e32 v96, v82, v167
	v_mul_f32_e32 v69, v76, v182
	v_mul_f32_e32 v82, v74, v184
	v_fma_f32 v35, v38, v169, -v66
	s_waitcnt lgkmcnt(3)
	v_mul_f32_e32 v137, v53, v186
	v_fmac_f32_e32 v41, v85, v169
	s_waitcnt lgkmcnt(2)
	v_mul_f32_e32 v85, v51, v188
	v_mul_f32_e32 v153, v77, v190
	;; [unrolled: 1-line block ×3, first 2 shown]
	s_waitcnt vmcnt(8)
	v_mul_f32_e32 v87, v7, v194
	v_mul_f32_e32 v156, v52, v196
	s_waitcnt vmcnt(7)
	v_mul_f32_e32 v157, v1, v198
	v_mul_f32_e32 v158, v57, v200
	s_waitcnt vmcnt(5)
	v_mul_f32_e32 v162, v70, v208
	v_fmac_f32_e32 v122, v76, v181
	v_fmac_f32_e32 v123, v74, v183
	s_waitcnt vmcnt(3)
	v_mul_f32_e32 v165, v64, v214
	v_mul_f32_e32 v166, v72, v216
	s_waitcnt vmcnt(2)
	v_mul_f32_e32 v167, v61, v220
	v_fma_f32 v28, v28, v191, -v154
	v_fmac_f32_e32 v86, v75, v191
	v_fmac_f32_e32 v134, v53, v185
	v_fmac_f32_e32 v133, v51, v187
	v_mul_f32_e32 v37, v32, v180
	v_fmac_f32_e32 v44, v83, v171
	v_mul_f32_e32 v155, v54, v194
	v_fma_f32 v113, v33, v173, -v67
	v_fmac_f32_e32 v110, v80, v173
	v_fma_f32 v119, v31, v175, -v119
	v_fmac_f32_e32 v116, v78, v175
	v_mul_f32_e32 v33, v5, v196
	v_mul_f32_e32 v84, v3, v198
	v_fma_f32 v31, v34, v177, -v135
	v_mul_f32_e32 v83, v12, v200
	v_mul_f32_e32 v159, v58, v202
	v_fmac_f32_e32 v48, v81, v177
	v_mul_f32_e32 v81, v13, v202
	v_mul_f32_e32 v160, v55, v204
	v_fma_f32 v32, v32, v179, -v136
	v_mul_f32_e32 v80, v10, v204
	v_mul_f32_e32 v161, v56, v206
	;; [unrolled: 1-line block ×6, first 2 shown]
	v_fma_f32 v34, v29, v181, -v69
	v_fma_f32 v135, v27, v183, -v82
	v_mul_f32_e32 v66, v21, v212
	v_mul_f32_e32 v67, v22, v214
	v_fma_f32 v27, v30, v189, -v153
	v_mul_f32_e32 v69, v25, v216
	v_mul_f32_e32 v153, v73, v218
	v_fmac_f32_e32 v38, v77, v189
	v_mul_f32_e32 v74, v26, v218
	v_mul_f32_e32 v76, v14, v220
	v_fma_f32 v136, v6, v185, -v137
	v_fma_f32 v137, v4, v187, -v85
	v_fmac_f32_e32 v87, v54, v193
	v_fma_f32 v30, v5, v195, -v156
	v_fma_f32 v85, v3, v197, -v157
	;; [unrolled: 1-line block ×7, first 2 shown]
	v_sub_f32_e32 v22, v117, v134
	v_sub_f32_e32 v23, v114, v123
	;; [unrolled: 1-line block ×3, first 2 shown]
	v_add_f32_e32 v51, v142, v121
	v_fmac_f32_e32 v37, v79, v179
	v_mul_f32_e32 v79, v11, v206
	v_fma_f32 v29, v7, v193, -v155
	v_fmac_f32_e32 v33, v52, v195
	v_fmac_f32_e32 v84, v1, v197
	v_fma_f32 v52, v13, v201, -v159
	v_fmac_f32_e32 v81, v58, v201
	v_fma_f32 v13, v10, v203, -v160
	;; [unrolled: 2-line block ×5, first 2 shown]
	v_fmac_f32_e32 v66, v63, v211
	v_fmac_f32_e32 v67, v64, v213
	;; [unrolled: 1-line block ×3, first 2 shown]
	v_fma_f32 v7, v26, v217, -v153
	v_fmac_f32_e32 v74, v73, v217
	v_fmac_f32_e32 v76, v61, v219
	v_add_f32_e32 v11, v118, v136
	v_add_f32_e32 v24, v115, v135
	;; [unrolled: 1-line block ×3, first 2 shown]
	v_mul_f32_e32 v70, 0xbf2c7751, v22
	v_mul_f32_e32 v71, 0xbf7ee86f, v22
	;; [unrolled: 1-line block ×10, first 2 shown]
	v_add_f32_e32 v51, v51, v118
	v_fma_f32 v174, 0x3dbcf732, v11, -v71
	v_fmac_f32_e32 v71, 0x3dbcf732, v11
	v_fma_f32 v175, 0xbf1a4643, v11, -v72
	v_fmac_f32_e32 v72, 0xbf1a4643, v11
	;; [unrolled: 2-line block ×8, first 2 shown]
	v_fmac_f32_e32 v79, v56, v205
	v_sub_f32_e32 v56, v111, v116
	v_fmac_f32_e32 v83, v57, v199
	v_add_f32_e32 v57, v112, v119
	s_waitcnt vmcnt(0) lgkmcnt(0)
	s_barrier
	v_mul_f32_e32 v160, 0xbf763a35, v56
	v_mul_f32_e32 v162, 0x3f2c7751, v56
	;; [unrolled: 1-line block ×6, first 2 shown]
	v_fma_f32 v196, 0x3f3d2fb0, v57, -v162
	v_fmac_f32_e32 v162, 0x3f3d2fb0, v57
	v_fma_f32 v197, 0x3ee437d1, v57, -v163
	v_fmac_f32_e32 v163, 0x3ee437d1, v57
	;; [unrolled: 2-line block ×3, first 2 shown]
	buffer_gl0_inv
	v_mul_f32_e32 v154, v62, v146
	v_mul_f32_e32 v75, v15, v146
	;; [unrolled: 1-line block ×8, first 2 shown]
	v_fma_f32 v14, v15, v145, -v154
	v_fma_f32 v15, v8, v147, -v146
	v_sub_f32_e32 v8, v120, v133
	v_fmac_f32_e32 v75, v62, v145
	v_fmac_f32_e32 v77, v59, v147
	v_fma_f32 v21, v9, v149, -v148
	v_fmac_f32_e32 v82, v60, v149
	v_fma_f32 v55, v143, v151, -v150
	v_fmac_f32_e32 v53, v144, v151
	v_add_f32_e32 v9, v121, v137
	v_mul_f32_e32 v58, 0xbeb8f4ab, v8
	v_mul_f32_e32 v59, 0xbf2c7751, v8
	;; [unrolled: 1-line block ×22, first 2 shown]
	v_fma_f32 v166, 0x3f6eb680, v9, -v58
	v_fmac_f32_e32 v58, 0x3f6eb680, v9
	v_fma_f32 v167, 0x3f3d2fb0, v9, -v59
	v_fmac_f32_e32 v59, 0x3f3d2fb0, v9
	;; [unrolled: 2-line block ×24, first 2 shown]
	v_add_f32_e32 v26, v51, v115
	v_add_f32_e32 v8, v142, v8
	;; [unrolled: 1-line block ×53, first 2 shown]
	v_fma_f32 v51, 0xbe8c1d8e, v57, -v160
	v_fma_f32 v142, 0xbf7ba420, v57, -v164
	v_add_f32_e32 v22, v22, v135
	v_fmac_f32_e32 v164, 0xbf7ba420, v57
	v_fma_f32 v166, 0x3dbcf732, v57, -v165
	v_add_f32_e32 v145, v180, v173
	v_add_f32_e32 v73, v186, v144
	v_add_f32_e32 v22, v22, v136
	v_add_f32_e32 v64, v152, v64
	v_add_f32_e32 v8, v23, v8
	v_add_f32_e32 v9, v24, v9
	v_add_f32_e32 v23, v188, v26
	v_add_f32_e32 v24, v154, v58
	v_add_f32_e32 v26, v189, v59
	v_add_f32_e32 v58, v155, v60
	v_add_f32_e32 v59, v190, v70
	v_add_f32_e32 v60, v156, v61
	v_add_f32_e32 v61, v191, v71
	v_add_f32_e32 v70, v157, v62
	v_add_f32_e32 v71, v192, v72
	v_add_f32_e32 v62, v22, v137
	v_mul_f32_e32 v22, 0xbeb8f4ab, v56
	v_add_f32_e32 v143, v187, v145
	v_add_f32_e32 v72, v193, v73
	;; [unrolled: 1-line block ×12, first 2 shown]
	v_fma_f32 v70, 0x3f6eb680, v57, -v22
	v_mul_f32_e32 v56, 0xbf4c4adb, v56
	v_sub_f32_e32 v71, v97, v110
	v_fmac_f32_e32 v22, 0x3f6eb680, v57
	v_add_f32_e32 v73, v194, v143
	v_add_f32_e32 v70, v70, v72
	v_fma_f32 v72, 0xbf1a4643, v57, -v56
	v_add_f32_e32 v142, v107, v113
	v_mul_f32_e32 v143, 0xbf4c4adb, v71
	v_add_f32_e32 v22, v22, v64
	v_fmac_f32_e32 v56, 0xbf1a4643, v57
	v_mul_f32_e32 v64, 0x3f763a35, v71
	v_fmac_f32_e32 v160, 0xbe8c1d8e, v57
	v_add_f32_e32 v23, v195, v23
	v_fmac_f32_e32 v165, 0x3dbcf732, v57
	v_add_f32_e32 v57, v72, v73
	v_fma_f32 v72, 0xbf1a4643, v142, -v143
	v_add_f32_e32 v8, v56, v8
	v_mul_f32_e32 v56, 0xbeb8f4ab, v71
	v_fma_f32 v73, 0xbe8c1d8e, v142, -v64
	v_add_f32_e32 v63, v151, v63
	v_add_f32_e32 v11, v153, v11
	v_add_f32_e32 v24, v161, v24
	v_add_f32_e32 v9, v72, v9
	v_fmac_f32_e32 v64, 0xbe8c1d8e, v142
	v_fma_f32 v72, 0x3f6eb680, v142, -v56
	v_add_f32_e32 v23, v73, v23
	v_mul_f32_e32 v73, 0xbf06c442, v71
	v_fmac_f32_e32 v56, 0x3f6eb680, v142
	v_add_f32_e32 v63, v158, v63
	v_add_f32_e32 v11, v160, v11
	v_fmac_f32_e32 v143, 0xbf1a4643, v142
	v_add_f32_e32 v24, v64, v24
	v_add_f32_e32 v25, v72, v25
	v_mul_f32_e32 v64, 0x3f7ee86f, v71
	v_fma_f32 v72, 0xbf59a7d5, v142, -v73
	v_add_f32_e32 v26, v56, v26
	v_mul_f32_e32 v56, 0xbf2c7751, v71
	v_add_f32_e32 v63, v165, v63
	v_add_f32_e32 v11, v143, v11
	v_fma_f32 v143, 0x3dbcf732, v142, -v64
	v_add_f32_e32 v51, v72, v51
	v_fmac_f32_e32 v64, 0x3dbcf732, v142
	v_fma_f32 v72, 0x3f3d2fb0, v142, -v56
	v_fmac_f32_e32 v56, 0x3f3d2fb0, v142
	v_fmac_f32_e32 v73, 0xbf59a7d5, v142
	v_add_f32_e32 v59, v143, v59
	v_add_f32_e32 v60, v64, v60
	v_mul_f32_e32 v64, 0xbe3c28d5, v71
	v_mul_f32_e32 v71, 0x3f65296c, v71
	v_add_f32_e32 v56, v56, v63
	v_sub_f32_e32 v63, v93, v96
	v_add_f32_e32 v58, v73, v58
	v_add_f32_e32 v61, v72, v61
	v_fma_f32 v72, 0xbf7ba420, v142, -v64
	v_fmac_f32_e32 v64, 0xbf7ba420, v142
	v_fma_f32 v73, 0x3ee437d1, v142, -v71
	v_add_f32_e32 v143, v95, v99
	v_mul_f32_e32 v144, 0xbf06c442, v63
	v_fmac_f32_e32 v71, 0x3ee437d1, v142
	v_add_f32_e32 v70, v72, v70
	v_add_f32_e32 v22, v64, v22
	v_mul_f32_e32 v72, 0x3f65296c, v63
	v_fma_f32 v64, 0xbf59a7d5, v143, -v144
	v_add_f32_e32 v8, v71, v8
	v_mul_f32_e32 v71, 0xbf7ee86f, v63
	v_add_f32_e32 v57, v73, v57
	v_mul_f32_e32 v142, 0x3f4c4adb, v63
	v_add_f32_e32 v9, v64, v9
	v_fma_f32 v64, 0x3ee437d1, v143, -v72
	v_fmac_f32_e32 v72, 0x3ee437d1, v143
	v_fma_f32 v73, 0x3dbcf732, v143, -v71
	v_fmac_f32_e32 v71, 0x3dbcf732, v143
	v_fmac_f32_e32 v144, 0xbf59a7d5, v143
	v_add_f32_e32 v23, v64, v23
	v_add_f32_e32 v24, v72, v24
	v_fma_f32 v64, 0xbf1a4643, v143, -v142
	v_mul_f32_e32 v72, 0xbeb8f4ab, v63
	v_add_f32_e32 v26, v71, v26
	v_mul_f32_e32 v71, 0xbe3c28d5, v63
	v_add_f32_e32 v25, v73, v25
	v_add_f32_e32 v51, v64, v51
	v_fma_f32 v64, 0x3f6eb680, v143, -v72
	v_fmac_f32_e32 v142, 0xbf1a4643, v143
	v_fma_f32 v73, 0xbf7ba420, v143, -v71
	v_fmac_f32_e32 v71, 0xbf7ba420, v143
	v_fmac_f32_e32 v72, 0x3f6eb680, v143
	v_add_f32_e32 v59, v64, v59
	v_mul_f32_e32 v64, 0x3f2c7751, v63
	v_mul_f32_e32 v63, 0xbf763a35, v63
	v_add_f32_e32 v56, v71, v56
	v_sub_f32_e32 v71, v91, v92
	v_add_f32_e32 v11, v144, v11
	v_add_f32_e32 v58, v142, v58
	;; [unrolled: 1-line block ×4, first 2 shown]
	v_fma_f32 v72, 0x3f3d2fb0, v143, -v64
	v_fmac_f32_e32 v64, 0x3f3d2fb0, v143
	v_add_f32_e32 v73, v88, v89
	v_mul_f32_e32 v142, 0xbe3c28d5, v71
	v_fma_f32 v144, 0xbe8c1d8e, v143, -v63
	v_add_f32_e32 v70, v72, v70
	v_add_f32_e32 v64, v64, v22
	v_fmac_f32_e32 v63, 0xbe8c1d8e, v143
	v_fma_f32 v22, 0xbf7ba420, v73, -v142
	v_add_f32_e32 v72, v144, v57
	v_mul_f32_e32 v57, 0x3eb8f4ab, v71
	v_fmac_f32_e32 v142, 0xbf7ba420, v73
	v_add_f32_e32 v8, v63, v8
	v_add_f32_e32 v63, v22, v9
	v_mul_f32_e32 v22, 0xbf06c442, v71
	v_fma_f32 v143, 0x3f6eb680, v73, -v57
	v_add_f32_e32 v9, v142, v11
	v_fmac_f32_e32 v57, 0x3f6eb680, v73
	v_mul_f32_e32 v142, 0x3f2c7751, v71
	v_fma_f32 v144, 0xbf59a7d5, v73, -v22
	v_add_f32_e32 v143, v143, v23
	v_fmac_f32_e32 v22, 0xbf59a7d5, v73
	v_add_f32_e32 v11, v57, v24
	v_fma_f32 v23, 0x3f3d2fb0, v73, -v142
	v_mul_f32_e32 v57, 0x3f65296c, v71
	v_add_f32_e32 v144, v144, v25
	v_mul_f32_e32 v25, 0xbf4c4adb, v71
	v_fmac_f32_e32 v142, 0x3f3d2fb0, v73
	v_add_f32_e32 v23, v23, v51
	v_fma_f32 v51, 0x3ee437d1, v73, -v57
	v_fmac_f32_e32 v57, 0x3ee437d1, v73
	v_add_f32_e32 v22, v22, v26
	v_fma_f32 v26, 0xbf1a4643, v73, -v25
	v_fmac_f32_e32 v25, 0xbf1a4643, v73
	v_add_f32_e32 v51, v51, v61
	v_mul_f32_e32 v61, 0x3f7ee86f, v71
	v_add_f32_e32 v24, v142, v58
	v_add_f32_e32 v58, v57, v56
	v_mul_f32_e32 v142, 0xbf763a35, v71
	v_add_f32_e32 v25, v25, v60
	v_fma_f32 v56, 0x3dbcf732, v73, -v61
	v_fmac_f32_e32 v61, 0x3dbcf732, v73
	v_add_f32_e32 v26, v26, v59
	v_fma_f32 v59, 0xbe8c1d8e, v73, -v142
	v_fmac_f32_e32 v142, 0xbe8c1d8e, v73
	v_add_f32_e32 v60, v56, v72
	v_add_f32_e32 v61, v61, v8
	v_and_b32_e32 v56, 0xffff, v141
	v_mov_b32_e32 v8, 2
	v_add_f32_e32 v57, v59, v70
	v_sub_f32_e32 v70, v103, v33
	v_add_f32_e32 v59, v142, v64
	v_mad_u32_u24 v56, 0x1dc, v56, 0
	v_lshlrev_b32_sdwa v140, v8, v140 dst_sel:DWORD dst_unused:UNUSED_PAD src0_sel:DWORD src1_sel:BYTE_0
	v_add_f32_e32 v64, v105, v30
	v_mul_f32_e32 v71, 0xbeb8f4ab, v70
	v_mul_f32_e32 v72, 0xbf2c7751, v70
	v_add_f32_e32 v151, v101, v29
	v_add3_u32 v56, v56, v140, v131
	v_mul_f32_e32 v73, 0xbf65296c, v70
	v_fma_f32 v142, 0x3f6eb680, v64, -v71
	v_fmac_f32_e32 v71, 0x3f6eb680, v64
	v_fma_f32 v145, 0x3f3d2fb0, v64, -v72
	ds_write2_b32 v56, v62, v63 offset1:7
	v_sub_f32_e32 v63, v100, v87
	v_mul_f32_e32 v141, 0xbf7ee86f, v70
	v_mul_f32_e32 v147, 0xbf763a35, v70
	;; [unrolled: 1-line block ×6, first 2 shown]
	ds_write2_b32 v56, v143, v144 offset0:14 offset1:21
	v_add_f32_e32 v142, v132, v142
	v_fmac_f32_e32 v72, 0x3f3d2fb0, v64
	v_fma_f32 v144, 0x3f3d2fb0, v151, -v152
	v_fma_f32 v146, 0x3ee437d1, v64, -v73
	v_fmac_f32_e32 v73, 0x3ee437d1, v64
	v_fma_f32 v148, 0x3dbcf732, v64, -v141
	v_fmac_f32_e32 v141, 0x3dbcf732, v64
	;; [unrolled: 2-line block ×5, first 2 shown]
	v_add_f32_e32 v71, v132, v71
	v_fmac_f32_e32 v152, 0x3f3d2fb0, v151
	v_fma_f32 v153, 0xbf7ba420, v64, -v70
	v_mul_f32_e32 v154, 0xbf7ee86f, v63
	v_fmac_f32_e32 v70, 0xbf7ba420, v64
	v_add_f32_e32 v64, v144, v142
	v_add_f32_e32 v142, v132, v145
	v_mul_f32_e32 v145, 0xbf4c4adb, v63
	v_add_f32_e32 v71, v152, v71
	v_fma_f32 v144, 0x3dbcf732, v151, -v154
	v_add_f32_e32 v146, v132, v146
	v_mul_f32_e32 v152, 0xbe3c28d5, v63
	v_fma_f32 v155, 0xbf1a4643, v151, -v145
	v_add_f32_e32 v72, v132, v72
	v_fmac_f32_e32 v154, 0x3dbcf732, v151
	v_add_f32_e32 v73, v132, v73
	v_fmac_f32_e32 v145, 0xbf1a4643, v151
	v_add_f32_e32 v148, v132, v148
	v_fma_f32 v156, 0xbf7ba420, v151, -v152
	v_add_f32_e32 v142, v144, v142
	v_add_f32_e32 v144, v155, v146
	v_mul_f32_e32 v146, 0x3f06c442, v63
	v_add_f32_e32 v72, v154, v72
	v_add_f32_e32 v73, v145, v73
	v_add_f32_e32 v145, v156, v148
	v_add_f32_e32 v148, v132, v149
	v_mul_f32_e32 v149, 0x3f763a35, v63
	v_fma_f32 v154, 0xbf59a7d5, v151, -v146
	v_add_f32_e32 v147, v132, v147
	v_fmac_f32_e32 v146, 0xbf59a7d5, v151
	v_add_f32_e32 v141, v132, v141
	v_fmac_f32_e32 v152, 0xbf7ba420, v151
	v_fma_f32 v155, 0xbe8c1d8e, v151, -v149
	v_add_f32_e32 v140, v132, v140
	v_add_f32_e32 v146, v146, v147
	v_mul_f32_e32 v147, 0x3f65296c, v63
	v_fmac_f32_e32 v149, 0xbe8c1d8e, v151
	v_add_f32_e32 v141, v152, v141
	v_add_f32_e32 v143, v132, v143
	;; [unrolled: 1-line block ×3, first 2 shown]
	v_fma_f32 v152, 0x3ee437d1, v151, -v147
	v_fmac_f32_e32 v147, 0x3ee437d1, v151
	v_add_f32_e32 v140, v149, v140
	v_mul_f32_e32 v63, 0x3eb8f4ab, v63
	v_sub_f32_e32 v149, v98, v86
	v_add_f32_e32 v148, v154, v148
	v_add_f32_e32 v143, v152, v143
	;; [unrolled: 1-line block ×4, first 2 shown]
	v_fma_f32 v152, 0x3f6eb680, v151, -v63
	v_add_f32_e32 v153, v94, v28
	v_mul_f32_e32 v154, 0xbf65296c, v149
	v_fmac_f32_e32 v63, 0x3f6eb680, v151
	v_add_f32_e32 v70, v132, v70
	v_add_f32_e32 v147, v152, v147
	;; [unrolled: 1-line block ×3, first 2 shown]
	v_fma_f32 v152, 0x3ee437d1, v153, -v154
	v_fmac_f32_e32 v154, 0x3ee437d1, v153
	v_add_f32_e32 v63, v63, v70
	v_mul_f32_e32 v70, 0x3e3c28d5, v149
	v_mul_f32_e32 v151, 0xbf4c4adb, v149
	v_add_f32_e32 v64, v152, v64
	v_add_f32_e32 v71, v154, v71
	v_mul_f32_e32 v154, 0x3f763a35, v149
	v_fma_f32 v152, 0xbf7ba420, v153, -v70
	v_fmac_f32_e32 v70, 0xbf7ba420, v153
	v_add_f32_e32 v150, v155, v150
	v_fma_f32 v155, 0xbf1a4643, v153, -v151
	v_fmac_f32_e32 v151, 0xbf1a4643, v153
	v_add_f32_e32 v144, v152, v144
	v_fma_f32 v152, 0xbe8c1d8e, v153, -v154
	v_add_f32_e32 v70, v70, v73
	v_mul_f32_e32 v73, 0xbeb8f4ab, v149
	v_add_f32_e32 v72, v151, v72
	v_mul_f32_e32 v151, 0x3f2c7751, v149
	v_fmac_f32_e32 v154, 0xbe8c1d8e, v153
	v_add_f32_e32 v145, v152, v145
	v_fma_f32 v152, 0x3f6eb680, v153, -v73
	v_add_f32_e32 v142, v155, v142
	v_fma_f32 v155, 0x3f3d2fb0, v153, -v151
	v_fmac_f32_e32 v151, 0x3f3d2fb0, v153
	v_add_f32_e32 v141, v154, v141
	v_mul_f32_e32 v154, 0xbf7ee86f, v149
	v_add_f32_e32 v150, v152, v150
	v_mul_f32_e32 v149, 0xbf06c442, v149
	v_fmac_f32_e32 v73, 0x3f6eb680, v153
	v_sub_f32_e32 v152, v47, v38
	v_add_f32_e32 v148, v155, v148
	v_add_f32_e32 v146, v151, v146
	v_fma_f32 v151, 0x3dbcf732, v153, -v154
	v_fmac_f32_e32 v154, 0x3dbcf732, v153
	v_fma_f32 v155, 0xbf59a7d5, v153, -v149
	v_fmac_f32_e32 v149, 0xbf59a7d5, v153
	v_add_f32_e32 v73, v73, v140
	v_add_f32_e32 v140, v49, v27
	v_mul_f32_e32 v153, 0xbf7ee86f, v152
	v_add_f32_e32 v143, v151, v143
	v_add_f32_e32 v62, v154, v62
	v_mul_f32_e32 v151, 0xbe3c28d5, v152
	v_add_f32_e32 v63, v149, v63
	v_fma_f32 v154, 0x3dbcf732, v140, -v153
	v_fmac_f32_e32 v153, 0x3dbcf732, v140
	v_mul_f32_e32 v149, 0x3f763a35, v152
	v_add_f32_e32 v147, v155, v147
	v_fma_f32 v155, 0xbf7ba420, v140, -v151
	v_add_f32_e32 v64, v154, v64
	v_add_f32_e32 v71, v153, v71
	v_fmac_f32_e32 v151, 0xbf7ba420, v140
	v_fma_f32 v153, 0xbe8c1d8e, v140, -v149
	v_mul_f32_e32 v154, 0x3eb8f4ab, v152
	v_fmac_f32_e32 v149, 0xbe8c1d8e, v140
	v_add_f32_e32 v142, v155, v142
	v_add_f32_e32 v72, v151, v72
	;; [unrolled: 1-line block ×3, first 2 shown]
	v_mul_f32_e32 v151, 0xbf65296c, v152
	v_fma_f32 v153, 0x3f6eb680, v140, -v154
	v_add_f32_e32 v70, v149, v70
	v_mul_f32_e32 v149, 0xbf06c442, v152
	v_fmac_f32_e32 v154, 0x3f6eb680, v140
	v_fma_f32 v155, 0x3ee437d1, v140, -v151
	v_add_f32_e32 v145, v153, v145
	v_fmac_f32_e32 v151, 0x3ee437d1, v140
	v_fma_f32 v153, 0xbf59a7d5, v140, -v149
	v_add_f32_e32 v141, v154, v141
	v_mul_f32_e32 v154, 0x3f4c4adb, v152
	v_fmac_f32_e32 v149, 0xbf59a7d5, v140
	v_add_f32_e32 v146, v151, v146
	v_add_f32_e32 v150, v153, v150
	v_mul_f32_e32 v151, 0x3f2c7751, v152
	v_sub_f32_e32 v153, v50, v37
	v_add_f32_e32 v148, v155, v148
	v_fma_f32 v152, 0xbf1a4643, v140, -v154
	v_fmac_f32_e32 v154, 0xbf1a4643, v140
	v_fma_f32 v155, 0x3f3d2fb0, v140, -v151
	v_fmac_f32_e32 v151, 0x3f3d2fb0, v140
	v_add_f32_e32 v73, v149, v73
	v_add_f32_e32 v140, v90, v32
	v_mul_f32_e32 v149, 0xbf763a35, v153
	v_add_f32_e32 v143, v152, v143
	v_add_f32_e32 v62, v154, v62
	v_mul_f32_e32 v152, 0x3f06c442, v153
	v_add_f32_e32 v63, v151, v63
	v_fma_f32 v154, 0xbe8c1d8e, v140, -v149
	v_fmac_f32_e32 v149, 0xbe8c1d8e, v140
	v_mul_f32_e32 v151, 0x3f2c7751, v153
	v_add_f32_e32 v147, v155, v147
	v_fma_f32 v155, 0xbf59a7d5, v140, -v152
	v_add_f32_e32 v64, v154, v64
	v_add_f32_e32 v71, v149, v71
	v_fmac_f32_e32 v152, 0xbf59a7d5, v140
	v_fma_f32 v149, 0x3f3d2fb0, v140, -v151
	v_mul_f32_e32 v154, 0xbf65296c, v153
	v_fmac_f32_e32 v151, 0x3f3d2fb0, v140
	v_add_f32_e32 v142, v155, v142
	v_add_f32_e32 v72, v152, v72
	;; [unrolled: 1-line block ×3, first 2 shown]
	v_mul_f32_e32 v149, 0xbe3c28d5, v153
	v_fma_f32 v152, 0x3ee437d1, v140, -v154
	v_add_f32_e32 v70, v151, v70
	v_mul_f32_e32 v151, 0x3f7ee86f, v153
	v_fmac_f32_e32 v154, 0x3ee437d1, v140
	v_fma_f32 v155, 0xbf7ba420, v140, -v149
	v_add_f32_e32 v145, v152, v145
	v_fmac_f32_e32 v149, 0xbf7ba420, v140
	v_fma_f32 v152, 0x3dbcf732, v140, -v151
	v_add_f32_e32 v141, v154, v141
	v_mul_f32_e32 v154, 0xbeb8f4ab, v153
	v_fmac_f32_e32 v151, 0x3dbcf732, v140
	v_add_f32_e32 v146, v149, v146
	v_add_f32_e32 v149, v152, v150
	v_mul_f32_e32 v150, 0xbf4c4adb, v153
	v_sub_f32_e32 v153, v45, v48
	v_add_f32_e32 v148, v155, v148
	v_fma_f32 v152, 0x3f6eb680, v140, -v154
	v_fmac_f32_e32 v154, 0x3f6eb680, v140
	v_fma_f32 v155, 0xbf1a4643, v140, -v150
	v_fmac_f32_e32 v150, 0xbf1a4643, v140
	v_add_f32_e32 v73, v151, v73
	v_add_f32_e32 v140, v46, v31
	v_mul_f32_e32 v151, 0xbf4c4adb, v153
	v_add_f32_e32 v143, v152, v143
	v_add_f32_e32 v62, v154, v62
	v_mul_f32_e32 v152, 0x3f763a35, v153
	v_add_f32_e32 v63, v150, v63
	v_fma_f32 v154, 0xbf1a4643, v140, -v151
	v_fmac_f32_e32 v151, 0xbf1a4643, v140
	v_mul_f32_e32 v150, 0xbeb8f4ab, v153
	v_add_f32_e32 v147, v155, v147
	v_fma_f32 v155, 0xbe8c1d8e, v140, -v152
	v_add_f32_e32 v64, v154, v64
	v_add_f32_e32 v71, v151, v71
	v_fmac_f32_e32 v152, 0xbe8c1d8e, v140
	v_fma_f32 v151, 0x3f6eb680, v140, -v150
	v_fmac_f32_e32 v150, 0x3f6eb680, v140
	v_mul_f32_e32 v154, 0xbf06c442, v153
	v_add_f32_e32 v142, v155, v142
	v_add_f32_e32 v72, v152, v72
	;; [unrolled: 1-line block ×3, first 2 shown]
	v_mul_f32_e32 v151, 0x3f7ee86f, v153
	v_add_f32_e32 v70, v150, v70
	v_fma_f32 v150, 0xbf59a7d5, v140, -v154
	v_mul_f32_e32 v152, 0xbf2c7751, v153
	v_fmac_f32_e32 v154, 0xbf59a7d5, v140
	v_fma_f32 v155, 0x3dbcf732, v140, -v151
	v_fmac_f32_e32 v151, 0x3dbcf732, v140
	v_add_f32_e32 v145, v150, v145
	v_fma_f32 v150, 0x3f3d2fb0, v140, -v152
	v_add_f32_e32 v132, v132, v105
	v_add_f32_e32 v141, v154, v141
	;; [unrolled: 1-line block ×3, first 2 shown]
	v_mul_f32_e32 v151, 0xbe3c28d5, v153
	v_add_f32_e32 v149, v150, v149
	v_mul_f32_e32 v150, 0x3f65296c, v153
	v_sub_f32_e32 v153, v43, v44
	v_add_f32_e32 v156, v42, v36
	v_fma_f32 v154, 0xbf7ba420, v140, -v151
	v_fmac_f32_e32 v151, 0xbf7ba420, v140
	v_add_f32_e32 v132, v132, v101
	v_mul_f32_e32 v157, 0xbf06c442, v153
	v_add_f32_e32 v148, v155, v148
	v_fmac_f32_e32 v152, 0x3f3d2fb0, v140
	v_fma_f32 v155, 0x3ee437d1, v140, -v150
	v_fmac_f32_e32 v150, 0x3ee437d1, v140
	v_add_f32_e32 v140, v154, v143
	v_add_f32_e32 v62, v151, v62
	v_fma_f32 v143, 0xbf59a7d5, v156, -v157
	v_mul_f32_e32 v151, 0x3f65296c, v153
	v_add_f32_e32 v132, v132, v94
	v_add_f32_e32 v73, v152, v73
	;; [unrolled: 1-line block ×4, first 2 shown]
	v_mul_f32_e32 v143, 0xbf7ee86f, v153
	v_fma_f32 v150, 0x3ee437d1, v156, -v151
	v_mul_f32_e32 v152, 0x3f4c4adb, v153
	v_fmac_f32_e32 v151, 0x3ee437d1, v156
	v_add_f32_e32 v132, v132, v49
	v_fma_f32 v154, 0x3dbcf732, v156, -v143
	v_add_f32_e32 v142, v150, v142
	v_fmac_f32_e32 v143, 0x3dbcf732, v156
	v_fma_f32 v150, 0xbf1a4643, v156, -v152
	v_add_f32_e32 v72, v151, v72
	v_mul_f32_e32 v151, 0xbeb8f4ab, v153
	v_add_f32_e32 v132, v132, v90
	v_add_f32_e32 v70, v143, v70
	v_add_f32_e32 v143, v150, v145
	v_fmac_f32_e32 v152, 0xbf1a4643, v156
	v_mul_f32_e32 v145, 0xbe3c28d5, v153
	v_fma_f32 v150, 0x3f6eb680, v156, -v151
	v_add_f32_e32 v132, v132, v46
	v_add_f32_e32 v144, v154, v144
	v_fmac_f32_e32 v151, 0x3f6eb680, v156
	v_add_f32_e32 v141, v152, v141
	v_fma_f32 v152, 0xbf7ba420, v156, -v145
	v_add_f32_e32 v148, v150, v148
	v_mul_f32_e32 v150, 0x3f2c7751, v153
	v_fmac_f32_e32 v145, 0xbf7ba420, v156
	v_sub_f32_e32 v154, v39, v41
	v_add_f32_e32 v132, v132, v42
	v_add_f32_e32 v147, v155, v147
	;; [unrolled: 1-line block ×4, first 2 shown]
	v_mul_f32_e32 v151, 0xbf763a35, v153
	v_fma_f32 v152, 0x3f3d2fb0, v156, -v150
	v_fmac_f32_e32 v150, 0x3f3d2fb0, v156
	v_add_f32_e32 v73, v145, v73
	v_add_f32_e32 v145, v40, v35
	v_mul_f32_e32 v155, 0xbe3c28d5, v154
	v_add_f32_e32 v132, v132, v40
	v_fma_f32 v153, 0xbe8c1d8e, v156, -v151
	v_fmac_f32_e32 v151, 0xbe8c1d8e, v156
	v_add_f32_e32 v140, v152, v140
	v_add_f32_e32 v62, v150, v62
	v_fma_f32 v150, 0xbf7ba420, v145, -v155
	v_mul_f32_e32 v152, 0x3eb8f4ab, v154
	v_add_f32_e32 v132, v132, v35
	v_add_f32_e32 v63, v151, v63
	v_mul_f32_e32 v151, 0xbf06c442, v154
	v_add_f32_e32 v64, v150, v64
	v_fma_f32 v150, 0x3f6eb680, v145, -v152
	v_add_f32_e32 v132, v132, v36
	v_add_f32_e32 v147, v153, v147
	v_fmac_f32_e32 v152, 0x3f6eb680, v145
	v_mul_f32_e32 v153, 0x3f2c7751, v154
	v_add_f32_e32 v142, v150, v142
	v_fma_f32 v150, 0xbf59a7d5, v145, -v151
	v_add_f32_e32 v132, v132, v31
	v_add_f32_e32 v72, v152, v72
	v_fmac_f32_e32 v151, 0xbf59a7d5, v145
	;; [unrolled: 6-line block ×4, first 2 shown]
	v_mul_f32_e32 v153, 0xbf763a35, v154
	v_add_f32_e32 v148, v150, v148
	v_fma_f32 v150, 0x3ee437d1, v145, -v151
	v_add_f32_e32 v132, v132, v28
	v_fmac_f32_e32 v157, 0xbf59a7d5, v156
	v_add_f32_e32 v146, v152, v146
	v_mul_f32_e32 v152, 0x3f7ee86f, v154
	v_add_f32_e32 v149, v150, v149
	v_fma_f32 v150, 0xbe8c1d8e, v145, -v153
	v_lshlrev_b32_sdwa v138, v8, v138 dst_sel:DWORD dst_unused:UNUSED_PAD src0_sel:DWORD src1_sel:BYTE_0
	v_add_f32_e32 v132, v132, v29
	v_add_f32_e32 v71, v157, v71
	v_fmac_f32_e32 v155, 0xbf7ba420, v145
	v_fmac_f32_e32 v151, 0x3ee437d1, v145
	;; [unrolled: 1-line block ×3, first 2 shown]
	v_add_f32_e32 v140, v150, v140
	v_fma_f32 v150, 0x3dbcf732, v145, -v152
	v_fmac_f32_e32 v152, 0x3dbcf732, v145
	ds_write2_b32 v56, v23, v26 offset0:28 offset1:35
	ds_write2_b32 v56, v51, v57 offset0:42 offset1:49
	;; [unrolled: 1-line block ×3, first 2 shown]
	v_add3_u32 v57, v139, v138, v131
	v_add_f32_e32 v132, v132, v30
	v_add_f32_e32 v71, v155, v71
	;; [unrolled: 1-line block ×6, first 2 shown]
	ds_write2_b32 v56, v59, v58 offset0:70 offset1:77
	ds_write2_b32 v56, v25, v24 offset0:84 offset1:91
	;; [unrolled: 1-line block ×3, first 2 shown]
	ds_write_b32 v56, v9 offset:448
	ds_write2_b32 v57, v132, v64 offset1:7
	ds_write2_b32 v57, v142, v144 offset0:14 offset1:21
	ds_write2_b32 v57, v143, v148 offset0:28 offset1:35
	;; [unrolled: 1-line block ×7, first 2 shown]
	ds_write_b32 v57, v71 offset:448
	s_and_saveexec_b32 s1, s0
	s_cbranch_execz .LBB0_18
; %bb.17:
	v_sub_f32_e32 v61, v84, v53
	v_add_f32_e32 v51, v85, v55
	v_sub_f32_e32 v62, v83, v82
	v_add_f32_e32 v25, v54, v21
	v_sub_f32_e32 v63, v81, v77
	v_mul_f32_e32 v70, 0xbe3c28d5, v61
	v_add_f32_e32 v11, v52, v15
	v_mul_f32_e32 v71, 0x3eb8f4ab, v62
	v_sub_f32_e32 v58, v80, v75
	v_mul_f32_e32 v72, 0xbf06c442, v63
	v_fmamk_f32 v9, v51, 0xbf7ba420, v70
	v_add_f32_e32 v22, v13, v14
	v_fmamk_f32 v24, v25, 0x3f6eb680, v71
	v_sub_f32_e32 v59, v79, v76
	v_mul_f32_e32 v73, 0x3f2c7751, v58
	v_add_f32_e32 v9, v2, v9
	v_fmamk_f32 v132, v11, 0xbf59a7d5, v72
	v_add_f32_e32 v23, v10, v12
	v_sub_f32_e32 v64, v78, v74
	v_mul_f32_e32 v138, 0xbf4c4adb, v59
	v_add_f32_e32 v24, v24, v9
	v_fmamk_f32 v139, v22, 0x3f3d2fb0, v73
	v_add_f32_e32 v26, v6, v7
	v_sub_f32_e32 v60, v68, v69
	v_fma_f32 v70, 0xbf7ba420, v51, -v70
	v_add_f32_e32 v132, v132, v24
	v_mul_f32_e32 v140, 0x3f65296c, v64
	v_fmamk_f32 v141, v23, 0xbf1a4643, v138
	v_add_f32_e32 v9, v4, v5
	v_fma_f32 v71, 0x3f6eb680, v25, -v71
	v_add_f32_e32 v132, v139, v132
	v_add_f32_e32 v70, v2, v70
	v_mul_f32_e32 v139, 0xbf763a35, v60
	v_fmamk_f32 v142, v26, 0x3ee437d1, v140
	v_fma_f32 v72, 0xbf59a7d5, v11, -v72
	v_add_f32_e32 v132, v141, v132
	v_add_f32_e32 v70, v71, v70
	v_mul_f32_e32 v71, 0xbf06c442, v61
	v_fmamk_f32 v141, v9, 0xbe8c1d8e, v139
	v_fma_f32 v73, 0x3f3d2fb0, v22, -v73
	v_add_f32_e32 v132, v142, v132
	v_add_f32_e32 v70, v72, v70
	v_sub_f32_e32 v72, v66, v67
	v_fmamk_f32 v142, v51, 0xbf59a7d5, v71
	v_add_f32_e32 v24, v1, v3
	v_add_f32_e32 v132, v141, v132
	v_mul_f32_e32 v141, 0x3f65296c, v62
	v_add_f32_e32 v70, v73, v70
	v_fma_f32 v73, 0xbf1a4643, v23, -v138
	v_mul_f32_e32 v138, 0x3f7ee86f, v72
	v_add_f32_e32 v142, v2, v142
	v_fmamk_f32 v143, v25, 0x3ee437d1, v141
	v_mul_f32_e32 v144, 0xbf7ee86f, v63
	v_add_f32_e32 v70, v73, v70
	v_fma_f32 v73, 0x3ee437d1, v26, -v140
	v_fmamk_f32 v140, v24, 0x3dbcf732, v138
	v_add_f32_e32 v142, v143, v142
	v_fmamk_f32 v143, v11, 0x3dbcf732, v144
	v_mul_f32_e32 v145, 0x3f4c4adb, v58
	v_add_f32_e32 v70, v73, v70
	v_fma_f32 v73, 0xbe8c1d8e, v9, -v139
	v_add_f32_e32 v132, v140, v132
	v_add_f32_e32 v139, v143, v142
	v_fmamk_f32 v140, v22, 0xbf1a4643, v145
	v_mul_f32_e32 v142, 0xbeb8f4ab, v59
	v_add_f32_e32 v70, v73, v70
	v_fma_f32 v73, 0x3dbcf732, v24, -v138
	v_fma_f32 v71, 0xbf59a7d5, v51, -v71
	v_add_f32_e32 v138, v140, v139
	v_fmamk_f32 v139, v23, 0x3f6eb680, v142
	v_mul_f32_e32 v140, 0xbe3c28d5, v64
	v_add_f32_e32 v70, v73, v70
	v_add_f32_e32 v71, v2, v71
	v_fma_f32 v73, 0x3ee437d1, v25, -v141
	v_add_f32_e32 v138, v139, v138
	v_fmamk_f32 v139, v26, 0xbf7ba420, v140
	v_mul_f32_e32 v141, 0xbf4c4adb, v61
	v_mul_f32_e32 v147, 0xbeb8f4ab, v63
	v_add_f32_e32 v71, v73, v71
	v_fma_f32 v73, 0x3dbcf732, v11, -v144
	v_add_f32_e32 v138, v139, v138
	v_fmamk_f32 v139, v51, 0xbf1a4643, v141
	v_mul_f32_e32 v144, 0x3f763a35, v62
	v_mul_f32_e32 v143, 0x3f2c7751, v60
	v_add_f32_e32 v71, v73, v71
	v_fma_f32 v73, 0xbf1a4643, v22, -v145
	v_add_f32_e32 v139, v2, v139
	v_fmamk_f32 v145, v25, 0xbe8c1d8e, v144
	v_fmamk_f32 v146, v9, 0x3f3d2fb0, v143
	v_fma_f32 v141, 0xbf1a4643, v51, -v141
	v_add_f32_e32 v71, v73, v71
	v_fma_f32 v73, 0x3f6eb680, v23, -v142
	v_add_f32_e32 v139, v145, v139
	v_fmamk_f32 v142, v11, 0x3f6eb680, v147
	v_mul_f32_e32 v145, 0xbf06c442, v58
	v_add_f32_e32 v138, v146, v138
	v_add_f32_e32 v71, v73, v71
	v_fma_f32 v73, 0xbf7ba420, v26, -v140
	v_add_f32_e32 v139, v142, v139
	v_fmamk_f32 v140, v22, 0xbf59a7d5, v145
	v_mul_f32_e32 v142, 0x3f7ee86f, v59
	v_mul_f32_e32 v146, 0xbf763a35, v72
	v_add_f32_e32 v71, v73, v71
	v_fma_f32 v73, 0x3f3d2fb0, v9, -v143
	v_add_f32_e32 v139, v140, v139
	v_fmamk_f32 v140, v23, 0x3dbcf732, v142
	v_mul_f32_e32 v143, 0xbf2c7751, v64
	v_fmamk_f32 v148, v24, 0xbe8c1d8e, v146
	v_add_f32_e32 v71, v73, v71
	v_add_f32_e32 v141, v2, v141
	;; [unrolled: 1-line block ×3, first 2 shown]
	v_fmamk_f32 v139, v26, 0x3f3d2fb0, v143
	v_mul_f32_e32 v140, 0xbe3c28d5, v60
	v_add_f32_e32 v138, v148, v138
	v_fma_f32 v144, 0xbe8c1d8e, v25, -v144
	v_fma_f32 v146, 0xbe8c1d8e, v24, -v146
	v_add_f32_e32 v73, v139, v73
	v_fmamk_f32 v139, v9, 0xbf7ba420, v140
	v_mul_f32_e32 v148, 0xbf763a35, v61
	v_add_f32_e32 v141, v144, v141
	v_fma_f32 v144, 0x3f6eb680, v11, -v147
	v_add_f32_e32 v71, v146, v71
	v_add_f32_e32 v73, v139, v73
	v_fmamk_f32 v139, v51, 0xbe8c1d8e, v148
	v_mul_f32_e32 v146, 0x3f06c442, v62
	v_add_f32_e32 v141, v144, v141
	v_fma_f32 v144, 0xbf59a7d5, v22, -v145
	v_mul_f32_e32 v145, 0x3f65296c, v72
	v_add_f32_e32 v139, v2, v139
	v_fmamk_f32 v147, v25, 0xbf59a7d5, v146
	v_mul_f32_e32 v149, 0x3f2c7751, v63
	v_add_f32_e32 v141, v144, v141
	v_fma_f32 v142, 0x3dbcf732, v23, -v142
	v_fmamk_f32 v144, v24, 0x3ee437d1, v145
	v_add_f32_e32 v139, v147, v139
	v_fmamk_f32 v147, v11, 0x3f3d2fb0, v149
	v_mul_f32_e32 v150, 0xbf65296c, v58
	v_add_f32_e32 v141, v142, v141
	v_fma_f32 v142, 0x3f3d2fb0, v26, -v143
	v_add_f32_e32 v73, v144, v73
	v_add_f32_e32 v139, v147, v139
	v_fmamk_f32 v143, v22, 0x3ee437d1, v150
	v_mul_f32_e32 v144, 0xbe3c28d5, v59
	v_add_f32_e32 v141, v142, v141
	v_fma_f32 v140, 0xbf7ba420, v9, -v140
	v_fma_f32 v142, 0xbe8c1d8e, v51, -v148
	v_add_f32_e32 v139, v143, v139
	v_fmamk_f32 v143, v23, 0xbf7ba420, v144
	v_mul_f32_e32 v147, 0x3f7ee86f, v64
	v_add_f32_e32 v140, v140, v141
	v_add_f32_e32 v141, v2, v142
	v_fma_f32 v142, 0xbf59a7d5, v25, -v146
	v_add_f32_e32 v139, v143, v139
	v_fmamk_f32 v143, v26, 0x3dbcf732, v147
	v_mul_f32_e32 v146, 0xbeb8f4ab, v60
	v_fma_f32 v145, 0x3ee437d1, v24, -v145
	v_add_f32_e32 v141, v142, v141
	v_fma_f32 v142, 0x3f3d2fb0, v11, -v149
	v_add_f32_e32 v139, v143, v139
	v_fmamk_f32 v143, v9, 0x3f6eb680, v146
	v_add_f32_e32 v140, v145, v140
	v_mul_f32_e32 v145, 0xbf7ee86f, v61
	v_add_f32_e32 v141, v142, v141
	v_fma_f32 v142, 0x3ee437d1, v22, -v150
	v_add_f32_e32 v139, v143, v139
	v_mul_f32_e32 v143, 0xbf4c4adb, v72
	v_fmamk_f32 v148, v51, 0x3dbcf732, v145
	v_mul_f32_e32 v149, 0xbe3c28d5, v62
	v_add_f32_e32 v141, v142, v141
	v_fma_f32 v142, 0xbf7ba420, v23, -v144
	v_fmamk_f32 v144, v24, 0xbf1a4643, v143
	v_add_f32_e32 v148, v2, v148
	v_fmamk_f32 v150, v25, 0xbf7ba420, v149
	v_mul_f32_e32 v151, 0x3f763a35, v63
	v_add_f32_e32 v141, v142, v141
	v_fma_f32 v142, 0x3dbcf732, v26, -v147
	v_add_f32_e32 v139, v144, v139
	v_add_f32_e32 v144, v150, v148
	v_fmamk_f32 v147, v11, 0xbe8c1d8e, v151
	v_mul_f32_e32 v148, 0x3eb8f4ab, v58
	v_add_f32_e32 v141, v142, v141
	v_fma_f32 v142, 0x3f6eb680, v9, -v146
	v_fma_f32 v145, 0x3dbcf732, v51, -v145
	v_add_f32_e32 v144, v147, v144
	v_fmamk_f32 v146, v22, 0x3f6eb680, v148
	v_mul_f32_e32 v147, 0xbf65296c, v59
	v_add_f32_e32 v141, v142, v141
	v_add_f32_e32 v142, v2, v145
	v_fma_f32 v145, 0xbf7ba420, v25, -v149
	v_add_f32_e32 v144, v146, v144
	v_fmamk_f32 v146, v23, 0x3ee437d1, v147
	v_mul_f32_e32 v149, 0xbf06c442, v64
	v_fma_f32 v143, 0xbf1a4643, v24, -v143
	v_add_f32_e32 v142, v145, v142
	v_fma_f32 v145, 0xbe8c1d8e, v11, -v151
	v_add_f32_e32 v144, v146, v144
	v_fmamk_f32 v146, v26, 0xbf59a7d5, v149
	v_mul_f32_e32 v150, 0x3f4c4adb, v60
	v_add_f32_e32 v141, v143, v141
	v_add_f32_e32 v142, v145, v142
	v_fma_f32 v143, 0x3f6eb680, v22, -v148
	v_add_f32_e32 v144, v146, v144
	v_fmamk_f32 v145, v9, 0xbf1a4643, v150
	v_mul_f32_e32 v146, 0xbf65296c, v61
	v_mul_f32_e32 v148, 0x3f2c7751, v72
	v_add_f32_e32 v142, v143, v142
	v_fma_f32 v143, 0x3ee437d1, v23, -v147
	v_add_f32_e32 v144, v145, v144
	v_fmamk_f32 v145, v51, 0x3ee437d1, v146
	v_mul_f32_e32 v147, 0xbf4c4adb, v62
	v_mul_f32_e32 v152, 0x3e3c28d5, v63
	v_add_f32_e32 v142, v143, v142
	v_fma_f32 v143, 0xbf59a7d5, v26, -v149
	v_add_f32_e32 v145, v2, v145
	v_fmamk_f32 v149, v25, 0xbf1a4643, v147
	v_fmamk_f32 v151, v24, 0x3f3d2fb0, v148
	v_fma_f32 v150, 0xbf1a4643, v9, -v150
	v_add_f32_e32 v142, v143, v142
	v_fma_f32 v143, 0x3ee437d1, v51, -v146
	v_add_f32_e32 v145, v149, v145
	v_fmamk_f32 v146, v11, 0xbf7ba420, v152
	v_mul_f32_e32 v149, 0x3f763a35, v58
	v_add_f32_e32 v144, v151, v144
	v_add_f32_e32 v143, v2, v143
	v_fma_f32 v147, 0xbf1a4643, v25, -v147
	v_add_f32_e32 v145, v146, v145
	v_fmamk_f32 v146, v22, 0xbe8c1d8e, v149
	v_mul_f32_e32 v151, 0x3f2c7751, v59
	v_add_f32_e32 v142, v150, v142
	v_add_f32_e32 v143, v147, v143
	v_fma_f32 v147, 0xbf7ba420, v11, -v152
	v_add_f32_e32 v145, v146, v145
	v_fmamk_f32 v146, v23, 0x3f3d2fb0, v151
	v_mul_f32_e32 v150, 0xbeb8f4ab, v64
	v_fma_f32 v148, 0x3f3d2fb0, v24, -v148
	v_add_f32_e32 v143, v147, v143
	v_fma_f32 v147, 0xbe8c1d8e, v22, -v149
	v_add_f32_e32 v145, v146, v145
	v_fmamk_f32 v146, v26, 0x3f6eb680, v150
	v_mul_f32_e32 v149, 0xbf7ee86f, v60
	v_add_f32_e32 v142, v148, v142
	v_add_f32_e32 v143, v147, v143
	v_fma_f32 v147, 0x3f3d2fb0, v23, -v151
	v_add_f32_e32 v145, v146, v145
	v_fmamk_f32 v146, v9, 0x3dbcf732, v149
	v_mul_f32_e32 v148, 0xbf2c7751, v61
	v_mul_f32_e32 v151, 0xbf06c442, v72
	v_add_f32_e32 v143, v147, v143
	v_fma_f32 v147, 0x3f6eb680, v26, -v150
	v_add_f32_e32 v145, v146, v145
	v_fmamk_f32 v146, v51, 0x3f3d2fb0, v148
	v_mul_f32_e32 v150, 0xbf7ee86f, v62
	v_mul_f32_e32 v153, 0xbf4c4adb, v63
	v_add_f32_e32 v143, v147, v143
	v_fma_f32 v147, 0x3dbcf732, v9, -v149
	v_add_f32_e32 v146, v2, v146
	v_fmamk_f32 v149, v25, 0x3dbcf732, v150
	v_fmamk_f32 v152, v24, 0xbf59a7d5, v151
	v_fma_f32 v151, 0xbf59a7d5, v24, -v151
	v_add_f32_e32 v143, v147, v143
	v_fma_f32 v147, 0x3f3d2fb0, v51, -v148
	v_add_f32_e32 v146, v149, v146
	v_fmamk_f32 v148, v11, 0xbf1a4643, v153
	v_mul_f32_e32 v149, 0xbe3c28d5, v58
	v_add_f32_e32 v145, v152, v145
	v_mul_f32_e32 v152, 0x3f06c442, v59
	v_add_f32_e32 v147, v2, v147
	v_add_f32_e32 v146, v148, v146
	v_fmamk_f32 v148, v22, 0xbf7ba420, v149
	v_fma_f32 v150, 0x3dbcf732, v25, -v150
	v_add_f32_e32 v143, v151, v143
	v_add_f32_e32 v151, v2, v85
	v_fma_f32 v149, 0xbf7ba420, v22, -v149
	v_add_f32_e32 v146, v148, v146
	v_fmamk_f32 v148, v23, 0xbf59a7d5, v152
	v_add_f32_e32 v147, v150, v147
	v_fma_f32 v150, 0xbf1a4643, v11, -v153
	v_mul_f32_e32 v153, 0x3f763a35, v64
	v_mul_f32_e32 v61, 0xbeb8f4ab, v61
	v_add_f32_e32 v146, v148, v146
	v_add_f32_e32 v148, v151, v54
	;; [unrolled: 1-line block ×3, first 2 shown]
	v_mul_f32_e32 v62, 0xbf2c7751, v62
	v_mul_f32_e32 v63, 0xbf65296c, v63
	;; [unrolled: 1-line block ×3, first 2 shown]
	v_add_f32_e32 v148, v148, v52
	v_add_f32_e32 v147, v149, v147
	v_fma_f32 v149, 0xbf59a7d5, v23, -v152
	v_mul_f32_e32 v59, 0xbf763a35, v59
	v_fmamk_f32 v150, v26, 0xbe8c1d8e, v153
	v_add_f32_e32 v148, v148, v13
	v_mul_f32_e32 v151, 0x3f65296c, v60
	v_add_f32_e32 v147, v149, v147
	v_fma_f32 v149, 0xbe8c1d8e, v26, -v153
	v_lshlrev_b32_sdwa v8, v8, v65 dst_sel:DWORD dst_unused:UNUSED_PAD src0_sel:DWORD src1_sel:BYTE_0
	v_add_f32_e32 v148, v148, v10
	v_add_f32_e32 v146, v150, v146
	v_fmamk_f32 v150, v9, 0x3ee437d1, v151
	v_add_f32_e32 v147, v149, v147
	v_fmamk_f32 v149, v51, 0x3f6eb680, v61
	v_add_f32_e32 v148, v148, v6
	v_fma_f32 v51, 0x3f6eb680, v51, -v61
	v_mul_f32_e32 v152, 0x3eb8f4ab, v72
	v_fma_f32 v151, 0x3ee437d1, v9, -v151
	v_add_f32_e32 v61, v2, v149
	v_fmamk_f32 v149, v25, 0x3f3d2fb0, v62
	v_add_f32_e32 v148, v148, v4
	v_add_f32_e32 v2, v2, v51
	v_fma_f32 v25, 0x3f3d2fb0, v25, -v62
	v_add3_u32 v8, 0, v8, v131
	v_add_f32_e32 v51, v149, v61
	v_fmamk_f32 v61, v11, 0x3ee437d1, v63
	v_add_f32_e32 v62, v148, v1
	v_add_f32_e32 v2, v25, v2
	v_fma_f32 v11, 0x3ee437d1, v11, -v63
	v_add_f32_e32 v146, v150, v146
	v_add_f32_e32 v25, v61, v51
	;; [unrolled: 1-line block ×3, first 2 shown]
	v_fmamk_f32 v61, v22, 0x3dbcf732, v58
	v_add_f32_e32 v2, v11, v2
	v_fma_f32 v11, 0x3dbcf732, v22, -v58
	v_mul_f32_e32 v58, 0xbf4c4adb, v64
	v_add_f32_e32 v22, v51, v5
	v_add_f32_e32 v25, v61, v25
	v_fmamk_f32 v51, v23, 0xbe8c1d8e, v59
	v_add_f32_e32 v2, v11, v2
	v_fmamk_f32 v150, v24, 0x3f6eb680, v152
	v_add_f32_e32 v11, v22, v7
	v_fma_f32 v22, 0xbe8c1d8e, v23, -v59
	v_add_f32_e32 v25, v51, v25
	v_fmamk_f32 v51, v26, 0xbf1a4643, v58
	v_add_f32_e32 v23, v151, v147
	v_add_f32_e32 v11, v11, v12
	;; [unrolled: 1-line block ×3, first 2 shown]
	v_fma_f32 v22, 0xbf1a4643, v26, -v58
	v_mul_f32_e32 v26, 0xbf06c442, v60
	v_add_f32_e32 v25, v51, v25
	v_add_f32_e32 v11, v11, v14
	v_mul_f32_e32 v51, 0xbe3c28d5, v72
	v_add_f32_e32 v2, v22, v2
	v_fma_f32 v22, 0xbf59a7d5, v9, -v26
	v_fmamk_f32 v9, v9, 0xbf59a7d5, v26
	v_add_f32_e32 v11, v11, v15
	v_fma_f32 v58, 0x3f6eb680, v24, -v152
	v_add_nc_u32_e32 v26, 0x800, v8
	v_add_f32_e32 v2, v22, v2
	v_fma_f32 v22, 0xbf7ba420, v24, -v51
	v_add_f32_e32 v11, v11, v21
	v_add_f32_e32 v9, v9, v25
	v_fmamk_f32 v24, v24, 0xbf7ba420, v51
	v_add_f32_e32 v23, v58, v23
	v_add_f32_e32 v2, v22, v2
	;; [unrolled: 1-line block ×3, first 2 shown]
	v_add_nc_u32_e32 v22, 0x400, v8
	v_add_f32_e32 v25, v150, v146
	v_add_f32_e32 v9, v24, v9
	ds_write2_b32 v22, v11, v2 offset0:220 offset1:227
	ds_write2_b32 v22, v23, v143 offset0:234 offset1:241
	;; [unrolled: 1-line block ×8, first 2 shown]
	ds_write_b32 v8, v9 offset:2352
.LBB0_18:
	s_or_b32 exec_lo, exec_lo, s1
	v_sub_f32_e32 v8, v121, v137
	v_add_f32_e32 v9, v120, v133
	v_sub_f32_e32 v22, v118, v136
	v_add_f32_e32 v2, v104, v120
	v_add_f32_e32 v11, v117, v134
	v_mul_f32_e32 v23, 0xbeb8f4ab, v8
	v_mul_f32_e32 v25, 0xbf65296c, v8
	;; [unrolled: 1-line block ×10, first 2 shown]
	v_fmamk_f32 v70, v9, 0x3f6eb680, v23
	v_fmamk_f32 v72, v9, 0x3ee437d1, v25
	v_fma_f32 v25, 0x3ee437d1, v9, -v25
	v_add_f32_e32 v2, v2, v117
	v_mul_f32_e32 v61, 0xbf7ee86f, v22
	v_mul_f32_e32 v63, 0xbe3c28d5, v22
	v_fma_f32 v23, 0x3f6eb680, v9, -v23
	v_fmamk_f32 v71, v9, 0x3f3d2fb0, v24
	v_fma_f32 v24, 0x3f3d2fb0, v9, -v24
	v_fmamk_f32 v73, v9, 0x3dbcf732, v26
	;; [unrolled: 2-line block ×7, first 2 shown]
	v_fmamk_f32 v136, v11, 0xbf1a4643, v62
	v_fma_f32 v62, 0xbf1a4643, v11, -v62
	v_add_f32_e32 v70, v104, v70
	v_add_f32_e32 v25, v104, v25
	v_mul_f32_e32 v64, 0x3f06c442, v22
	v_fma_f32 v60, 0x3f3d2fb0, v11, -v60
	v_fmamk_f32 v132, v11, 0x3dbcf732, v61
	v_add_f32_e32 v23, v104, v23
	v_add_f32_e32 v71, v104, v71
	;; [unrolled: 1-line block ×4, first 2 shown]
	v_fmamk_f32 v70, v11, 0xbf7ba420, v63
	v_add_f32_e32 v25, v62, v25
	v_fma_f32 v62, 0xbf7ba420, v11, -v63
	v_mul_f32_e32 v63, 0x3f763a35, v22
	v_add_f32_e32 v51, v104, v51
	v_add_f32_e32 v58, v104, v58
	;; [unrolled: 1-line block ×4, first 2 shown]
	v_fmamk_f32 v71, v11, 0xbf59a7d5, v64
	v_fma_f32 v64, 0xbf59a7d5, v11, -v64
	v_add_f32_e32 v26, v62, v26
	v_fmamk_f32 v62, v11, 0xbe8c1d8e, v63
	v_fma_f32 v63, 0xbe8c1d8e, v11, -v63
	v_fma_f32 v61, 0x3dbcf732, v11, -v61
	v_add_f32_e32 v24, v104, v24
	v_add_f32_e32 v72, v104, v72
	;; [unrolled: 1-line block ×4, first 2 shown]
	v_mul_f32_e32 v64, 0x3f65296c, v22
	v_mul_f32_e32 v22, 0x3eb8f4ab, v22
	v_add_f32_e32 v58, v63, v58
	v_sub_f32_e32 v63, v115, v135
	v_add_f32_e32 v2, v2, v114
	v_add_f32_e32 v117, v104, v117
	;; [unrolled: 1-line block ×10, first 2 shown]
	v_fmamk_f32 v72, v11, 0x3ee437d1, v64
	v_fma_f32 v64, 0x3ee437d1, v11, -v64
	v_fmamk_f32 v73, v11, 0x3f6eb680, v22
	v_add_f32_e32 v104, v114, v123
	v_mul_f32_e32 v114, 0xbf65296c, v63
	v_fma_f32 v11, 0x3f6eb680, v11, -v22
	v_add_f32_e32 v22, v64, v59
	v_add_f32_e32 v59, v73, v121
	v_mul_f32_e32 v73, 0xbf4c4adb, v63
	v_fmamk_f32 v64, v104, 0x3ee437d1, v114
	v_add_f32_e32 v8, v11, v8
	v_fma_f32 v11, 0x3ee437d1, v104, -v114
	v_mul_f32_e32 v114, 0x3e3c28d5, v63
	v_mul_f32_e32 v115, 0x3f763a35, v63
	v_add_f32_e32 v9, v64, v9
	v_fmamk_f32 v64, v104, 0xbf1a4643, v73
	v_fma_f32 v73, 0xbf1a4643, v104, -v73
	v_add_f32_e32 v11, v11, v23
	v_fmamk_f32 v23, v104, 0xbf7ba420, v114
	v_add_f32_e32 v71, v71, v117
	v_add_f32_e32 v60, v64, v60
	;; [unrolled: 1-line block ×3, first 2 shown]
	v_fma_f32 v64, 0xbf7ba420, v104, -v114
	v_add_f32_e32 v23, v23, v61
	v_fmamk_f32 v61, v104, 0xbe8c1d8e, v115
	v_mul_f32_e32 v73, 0x3f2c7751, v63
	v_fma_f32 v114, 0xbe8c1d8e, v104, -v115
	v_add_f32_e32 v25, v64, v25
	v_mul_f32_e32 v64, 0xbeb8f4ab, v63
	v_add_f32_e32 v61, v61, v70
	v_fmamk_f32 v70, v104, 0x3f3d2fb0, v73
	v_mul_f32_e32 v115, 0xbf7ee86f, v63
	v_add_f32_e32 v72, v72, v120
	v_add_f32_e32 v26, v114, v26
	v_fma_f32 v73, 0x3f3d2fb0, v104, -v73
	v_fmamk_f32 v114, v104, 0x3f6eb680, v64
	v_add_f32_e32 v70, v70, v71
	v_fma_f32 v64, 0x3f6eb680, v104, -v64
	v_fmamk_f32 v71, v104, 0x3dbcf732, v115
	v_mul_f32_e32 v63, 0xbf06c442, v63
	v_sub_f32_e32 v34, v109, v34
	v_add_f32_e32 v2, v2, v108
	v_add_f32_e32 v51, v73, v51
	;; [unrolled: 1-line block ×3, first 2 shown]
	v_fma_f32 v64, 0x3dbcf732, v104, -v115
	v_add_f32_e32 v71, v71, v72
	v_fmamk_f32 v72, v104, 0xbf59a7d5, v63
	v_add_f32_e32 v73, v108, v122
	v_mul_f32_e32 v108, 0xbf7ee86f, v34
	v_fma_f32 v63, 0xbf59a7d5, v104, -v63
	v_add_f32_e32 v22, v64, v22
	v_add_f32_e32 v59, v72, v59
	v_mul_f32_e32 v64, 0xbe3c28d5, v34
	v_fmamk_f32 v72, v73, 0x3dbcf732, v108
	v_fma_f32 v104, 0x3dbcf732, v73, -v108
	v_add_f32_e32 v8, v63, v8
	v_mul_f32_e32 v63, 0x3f763a35, v34
	v_fmamk_f32 v108, v73, 0xbf7ba420, v64
	v_add_f32_e32 v9, v72, v9
	v_add_f32_e32 v11, v104, v11
	v_fma_f32 v64, 0xbf7ba420, v73, -v64
	v_fmamk_f32 v72, v73, 0xbe8c1d8e, v63
	v_mul_f32_e32 v104, 0x3eb8f4ab, v34
	v_fma_f32 v63, 0xbe8c1d8e, v73, -v63
	v_add_f32_e32 v62, v62, v118
	v_add_f32_e32 v24, v64, v24
	;; [unrolled: 1-line block ×3, first 2 shown]
	v_mul_f32_e32 v64, 0xbf65296c, v34
	v_fmamk_f32 v72, v73, 0x3f6eb680, v104
	v_add_f32_e32 v25, v63, v25
	v_fma_f32 v63, 0x3f6eb680, v73, -v104
	v_mul_f32_e32 v104, 0xbf06c442, v34
	v_add_f32_e32 v62, v114, v62
	v_add_f32_e32 v60, v108, v60
	v_fmamk_f32 v108, v73, 0x3ee437d1, v64
	v_fma_f32 v64, 0x3ee437d1, v73, -v64
	v_add_f32_e32 v26, v63, v26
	v_fmamk_f32 v63, v73, 0xbf59a7d5, v104
	v_add_f32_e32 v61, v72, v61
	v_fma_f32 v72, 0xbf59a7d5, v73, -v104
	v_add_f32_e32 v51, v64, v51
	v_mul_f32_e32 v64, 0x3f4c4adb, v34
	v_add_f32_e32 v62, v63, v62
	v_mul_f32_e32 v34, 0x3f2c7751, v34
	v_sub_f32_e32 v63, v112, v119
	v_add_f32_e32 v70, v108, v70
	v_add_f32_e32 v58, v72, v58
	v_fmamk_f32 v72, v73, 0xbf1a4643, v64
	v_fma_f32 v64, 0xbf1a4643, v73, -v64
	v_fmamk_f32 v104, v73, 0x3f3d2fb0, v34
	v_add_f32_e32 v108, v111, v116
	v_mul_f32_e32 v109, 0xbf763a35, v63
	v_fma_f32 v34, 0x3f3d2fb0, v73, -v34
	v_add_f32_e32 v71, v72, v71
	v_add_f32_e32 v22, v64, v22
	v_mul_f32_e32 v72, 0x3f06c442, v63
	v_fmamk_f32 v64, v108, 0xbe8c1d8e, v109
	v_fma_f32 v73, 0xbe8c1d8e, v108, -v109
	v_add_f32_e32 v8, v34, v8
	v_mul_f32_e32 v34, 0x3f2c7751, v63
	v_add_f32_e32 v59, v104, v59
	v_add_f32_e32 v9, v64, v9
	v_fmamk_f32 v64, v108, 0xbf59a7d5, v72
	v_add_f32_e32 v11, v73, v11
	v_fma_f32 v72, 0xbf59a7d5, v108, -v72
	v_fmamk_f32 v73, v108, 0x3f3d2fb0, v34
	v_mul_f32_e32 v104, 0xbf65296c, v63
	v_fma_f32 v34, 0x3f3d2fb0, v108, -v34
	v_add_f32_e32 v60, v64, v60
	v_add_f32_e32 v24, v72, v24
	;; [unrolled: 1-line block ×3, first 2 shown]
	v_fmamk_f32 v64, v108, 0x3ee437d1, v104
	v_mul_f32_e32 v72, 0xbe3c28d5, v63
	v_add_f32_e32 v25, v34, v25
	v_fma_f32 v34, 0x3ee437d1, v108, -v104
	v_mul_f32_e32 v73, 0x3f7ee86f, v63
	v_add_f32_e32 v61, v64, v61
	v_fmamk_f32 v64, v108, 0xbf7ba420, v72
	v_add_f32_e32 v2, v2, v111
	v_add_f32_e32 v26, v34, v26
	v_fmamk_f32 v34, v108, 0x3dbcf732, v73
	v_fma_f32 v72, 0xbf7ba420, v108, -v72
	v_fma_f32 v73, 0x3dbcf732, v108, -v73
	v_add_f32_e32 v64, v64, v70
	v_mul_f32_e32 v70, 0xbeb8f4ab, v63
	v_add_f32_e32 v34, v34, v62
	v_sub_f32_e32 v62, v107, v113
	v_add_f32_e32 v2, v2, v97
	v_add_f32_e32 v51, v72, v51
	;; [unrolled: 1-line block ×3, first 2 shown]
	v_mul_f32_e32 v63, 0xbf4c4adb, v63
	v_fmamk_f32 v72, v108, 0x3f6eb680, v70
	v_fma_f32 v70, 0x3f6eb680, v108, -v70
	v_add_f32_e32 v73, v97, v110
	v_mul_f32_e32 v97, 0xbf4c4adb, v62
	v_fmamk_f32 v104, v108, 0xbf1a4643, v63
	v_fma_f32 v63, 0xbf1a4643, v108, -v63
	v_add_f32_e32 v22, v70, v22
	v_add_f32_e32 v71, v72, v71
	v_fmamk_f32 v70, v73, 0xbf1a4643, v97
	v_mul_f32_e32 v72, 0x3f763a35, v62
	v_add_f32_e32 v8, v63, v8
	v_fma_f32 v63, 0xbf1a4643, v73, -v97
	v_add_f32_e32 v59, v104, v59
	v_add_f32_e32 v9, v70, v9
	v_mul_f32_e32 v70, 0xbeb8f4ab, v62
	v_fmamk_f32 v97, v73, 0xbe8c1d8e, v72
	v_fma_f32 v72, 0xbe8c1d8e, v73, -v72
	v_add_f32_e32 v11, v63, v11
	v_mul_f32_e32 v63, 0xbf06c442, v62
	v_fmamk_f32 v104, v73, 0x3f6eb680, v70
	v_fma_f32 v70, 0x3f6eb680, v73, -v70
	v_add_f32_e32 v60, v97, v60
	v_add_f32_e32 v24, v72, v24
	v_fmamk_f32 v72, v73, 0xbf59a7d5, v63
	v_fma_f32 v63, 0xbf59a7d5, v73, -v63
	v_mul_f32_e32 v97, 0x3f7ee86f, v62
	v_add_f32_e32 v25, v70, v25
	v_mul_f32_e32 v70, 0xbf2c7751, v62
	v_add_f32_e32 v23, v104, v23
	v_add_f32_e32 v61, v72, v61
	;; [unrolled: 1-line block ×3, first 2 shown]
	v_fmamk_f32 v63, v73, 0x3dbcf732, v97
	v_fma_f32 v72, 0x3dbcf732, v73, -v97
	v_mul_f32_e32 v97, 0xbe3c28d5, v62
	v_fmamk_f32 v104, v73, 0x3f3d2fb0, v70
	v_fma_f32 v70, 0x3f3d2fb0, v73, -v70
	v_add_f32_e32 v63, v63, v64
	v_add_f32_e32 v2, v2, v93
	v_fmamk_f32 v64, v73, 0xbf7ba420, v97
	v_add_f32_e32 v51, v72, v51
	v_add_f32_e32 v58, v70, v58
	v_sub_f32_e32 v70, v95, v99
	v_mul_f32_e32 v62, 0x3f65296c, v62
	v_add_f32_e32 v64, v64, v71
	v_fma_f32 v71, 0xbf7ba420, v73, -v97
	v_add_f32_e32 v72, v93, v96
	v_mul_f32_e32 v93, 0xbf06c442, v70
	v_fmamk_f32 v95, v73, 0x3ee437d1, v62
	v_fma_f32 v62, 0x3ee437d1, v73, -v62
	v_add_f32_e32 v22, v71, v22
	v_mul_f32_e32 v71, 0x3f65296c, v70
	v_fmamk_f32 v73, v72, 0xbf59a7d5, v93
	v_add_f32_e32 v2, v2, v91
	v_add_f32_e32 v8, v62, v8
	v_fma_f32 v62, 0xbf59a7d5, v72, -v93
	v_fmamk_f32 v93, v72, 0x3ee437d1, v71
	v_add_f32_e32 v9, v73, v9
	v_mul_f32_e32 v73, 0xbf7ee86f, v70
	v_fma_f32 v71, 0x3ee437d1, v72, -v71
	v_add_f32_e32 v11, v62, v11
	v_add_f32_e32 v60, v93, v60
	v_mul_f32_e32 v62, 0x3f4c4adb, v70
	v_fmamk_f32 v93, v72, 0x3dbcf732, v73
	v_add_f32_e32 v24, v71, v24
	v_mul_f32_e32 v71, 0xbeb8f4ab, v70
	v_add_f32_e32 v59, v95, v59
	v_fmamk_f32 v95, v72, 0xbf1a4643, v62
	v_add_f32_e32 v23, v93, v23
	v_fma_f32 v62, 0xbf1a4643, v72, -v62
	v_fmamk_f32 v93, v72, 0x3f6eb680, v71
	v_add_f32_e32 v2, v2, v92
	v_fma_f32 v73, 0x3dbcf732, v72, -v73
	v_add_f32_e32 v61, v95, v61
	v_add_f32_e32 v26, v62, v26
	;; [unrolled: 1-line block ×3, first 2 shown]
	v_mul_f32_e32 v63, 0x3f2c7751, v70
	v_fma_f32 v71, 0x3f6eb680, v72, -v71
	v_add_f32_e32 v95, v102, v103
	v_add_f32_e32 v2, v2, v96
	;; [unrolled: 1-line block ×3, first 2 shown]
	v_mul_f32_e32 v73, 0xbe3c28d5, v70
	v_fmamk_f32 v96, v72, 0x3f3d2fb0, v63
	v_add_f32_e32 v51, v71, v51
	v_add_f32_e32 v71, v95, v100
	v_add_f32_e32 v34, v104, v34
	v_fmamk_f32 v93, v72, 0xbf7ba420, v73
	v_fma_f32 v73, 0xbf7ba420, v72, -v73
	v_add_f32_e32 v104, v96, v64
	v_sub_f32_e32 v107, v88, v89
	v_mul_f32_e32 v64, 0xbf763a35, v70
	v_add_f32_e32 v70, v71, v98
	v_add_f32_e32 v58, v73, v58
	v_fma_f32 v63, 0x3f3d2fb0, v72, -v63
	v_add_f32_e32 v71, v91, v92
	v_mul_f32_e32 v73, 0xbe3c28d5, v107
	v_add_f32_e32 v70, v70, v47
	v_fmamk_f32 v88, v72, 0xbe8c1d8e, v64
	v_fma_f32 v64, 0xbe8c1d8e, v72, -v64
	v_add_f32_e32 v22, v63, v22
	v_fmamk_f32 v63, v71, 0xbf7ba420, v73
	v_add_f32_e32 v70, v70, v50
	v_mul_f32_e32 v72, 0x3eb8f4ab, v107
	v_add_f32_e32 v8, v64, v8
	v_mul_f32_e32 v91, 0xbf06c442, v107
	v_add_f32_e32 v64, v63, v9
	v_fma_f32 v9, 0xbf7ba420, v71, -v73
	v_add_f32_e32 v70, v70, v45
	v_fmamk_f32 v73, v71, 0x3f6eb680, v72
	v_fma_f32 v72, 0x3f6eb680, v71, -v72
	v_add_f32_e32 v59, v88, v59
	v_add_f32_e32 v63, v9, v11
	;; [unrolled: 1-line block ×3, first 2 shown]
	v_fmamk_f32 v11, v71, 0xbf59a7d5, v91
	v_add_f32_e32 v88, v73, v60
	v_add_f32_e32 v73, v72, v24
	v_mul_f32_e32 v24, 0x3f2c7751, v107
	v_add_f32_e32 v9, v9, v39
	v_add_f32_e32 v89, v11, v23
	v_fma_f32 v11, 0xbf59a7d5, v71, -v91
	v_mul_f32_e32 v23, 0xbf4c4adb, v107
	v_fmamk_f32 v60, v71, 0x3f3d2fb0, v24
	v_add_f32_e32 v9, v9, v41
	v_fma_f32 v24, 0x3f3d2fb0, v71, -v24
	v_add_f32_e32 v91, v11, v25
	v_fmamk_f32 v11, v71, 0xbf1a4643, v23
	v_add_f32_e32 v34, v93, v34
	v_add_f32_e32 v9, v9, v44
	;; [unrolled: 1-line block ×3, first 2 shown]
	v_mul_f32_e32 v24, 0x3f65296c, v107
	v_add_f32_e32 v95, v11, v62
	v_fma_f32 v11, 0xbf1a4643, v71, -v23
	v_add_f32_e32 v9, v9, v48
	v_mul_f32_e32 v23, 0xbf763a35, v107
	v_fmamk_f32 v25, v71, 0x3ee437d1, v24
	v_fma_f32 v24, 0x3ee437d1, v71, -v24
	v_add_f32_e32 v96, v11, v51
	v_add_f32_e32 v9, v9, v37
	v_fmamk_f32 v11, v71, 0xbe8c1d8e, v23
	v_add_f32_e32 v99, v25, v34
	v_add_f32_e32 v97, v24, v58
	v_mul_f32_e32 v24, 0x3f7ee86f, v107
	v_add_f32_e32 v9, v9, v38
	v_add_f32_e32 v104, v11, v104
	v_fma_f32 v11, 0xbe8c1d8e, v71, -v23
	v_sub_f32_e32 v23, v105, v30
	v_fmamk_f32 v25, v71, 0x3dbcf732, v24
	v_add_f32_e32 v9, v9, v86
	v_fma_f32 v24, 0x3dbcf732, v71, -v24
	v_add_f32_e32 v26, v103, v33
	v_mul_f32_e32 v30, 0xbeb8f4ab, v23
	v_add_f32_e32 v93, v60, v61
	v_add_f32_e32 v9, v9, v87
	;; [unrolled: 1-line block ×4, first 2 shown]
	v_fmamk_f32 v8, v26, 0x3f6eb680, v30
	v_mul_f32_e32 v11, 0xbf2c7751, v23
	v_add_f32_e32 v108, v9, v33
	v_fma_f32 v9, 0x3f6eb680, v26, -v30
	v_mul_f32_e32 v22, 0xbf65296c, v23
	v_mul_f32_e32 v30, 0xbf7ee86f, v23
	;; [unrolled: 1-line block ×6, first 2 shown]
	v_sub_f32_e32 v29, v101, v29
	v_add_f32_e32 v105, v25, v59
	v_fmamk_f32 v24, v26, 0x3f3d2fb0, v11
	v_fma_f32 v11, 0x3f3d2fb0, v26, -v11
	v_fmamk_f32 v62, v26, 0xbf7ba420, v23
	v_fmamk_f32 v25, v26, 0x3ee437d1, v22
	v_fma_f32 v22, 0x3ee437d1, v26, -v22
	v_fmamk_f32 v33, v26, 0x3dbcf732, v30
	v_fma_f32 v30, 0x3dbcf732, v26, -v30
	;; [unrolled: 2-line block ×5, first 2 shown]
	v_add_f32_e32 v70, v100, v87
	v_mul_f32_e32 v71, 0xbf2c7751, v29
	v_fma_f32 v23, 0xbf7ba420, v26, -v23
	v_add_f32_e32 v26, v102, v62
	v_mul_f32_e32 v62, 0xbf7ee86f, v29
	v_add_f32_e32 v8, v102, v8
	v_add_f32_e32 v9, v102, v9
	;; [unrolled: 1-line block ×3, first 2 shown]
	v_fmamk_f32 v72, v70, 0x3f3d2fb0, v71
	v_fma_f32 v71, 0x3f3d2fb0, v70, -v71
	v_mul_f32_e32 v87, 0xbf4c4adb, v29
	v_fmamk_f32 v100, v70, 0x3dbcf732, v62
	v_fma_f32 v62, 0x3dbcf732, v70, -v62
	v_add_f32_e32 v24, v102, v24
	v_add_f32_e32 v25, v102, v25
	;; [unrolled: 1-line block ×5, first 2 shown]
	v_fmamk_f32 v71, v70, 0xbf1a4643, v87
	v_mul_f32_e32 v72, 0xbe3c28d5, v29
	v_fma_f32 v87, 0xbf1a4643, v70, -v87
	v_add_f32_e32 v11, v62, v11
	v_mul_f32_e32 v62, 0x3f06c442, v29
	v_add_f32_e32 v33, v102, v33
	v_add_f32_e32 v30, v102, v30
	;; [unrolled: 1-line block ×5, first 2 shown]
	v_fmamk_f32 v71, v70, 0xbf7ba420, v72
	v_add_f32_e32 v22, v87, v22
	v_fma_f32 v72, 0xbf7ba420, v70, -v72
	v_mul_f32_e32 v87, 0x3f763a35, v29
	v_fmamk_f32 v100, v70, 0xbf59a7d5, v62
	v_fma_f32 v62, 0xbf59a7d5, v70, -v62
	v_add_f32_e32 v59, v102, v59
	v_add_f32_e32 v51, v102, v51
	;; [unrolled: 1-line block ×4, first 2 shown]
	v_fmamk_f32 v71, v70, 0xbe8c1d8e, v87
	v_fma_f32 v72, 0xbe8c1d8e, v70, -v87
	v_add_f32_e32 v34, v62, v34
	v_mul_f32_e32 v62, 0x3f65296c, v29
	v_mul_f32_e32 v29, 0x3eb8f4ab, v29
	v_sub_f32_e32 v28, v94, v28
	v_add_f32_e32 v61, v102, v61
	v_add_f32_e32 v60, v102, v60
	v_add_f32_e32 v23, v102, v23
	v_add_f32_e32 v59, v71, v59
	v_add_f32_e32 v51, v72, v51
	v_fmamk_f32 v71, v70, 0x3ee437d1, v62
	v_fma_f32 v62, 0x3ee437d1, v70, -v62
	v_fmamk_f32 v72, v70, 0x3f6eb680, v29
	v_add_f32_e32 v86, v98, v86
	v_mul_f32_e32 v87, 0xbf65296c, v28
	v_fma_f32 v29, 0x3f6eb680, v70, -v29
	v_add_f32_e32 v61, v71, v61
	v_add_f32_e32 v60, v62, v60
	v_mul_f32_e32 v70, 0xbf4c4adb, v28
	v_fmamk_f32 v62, v86, 0x3ee437d1, v87
	v_add_f32_e32 v23, v29, v23
	v_fma_f32 v29, 0x3ee437d1, v86, -v87
	v_mul_f32_e32 v71, 0x3e3c28d5, v28
	v_add_f32_e32 v26, v72, v26
	v_add_f32_e32 v8, v62, v8
	v_fmamk_f32 v62, v86, 0xbf1a4643, v70
	v_fma_f32 v70, 0xbf1a4643, v86, -v70
	v_add_f32_e32 v9, v29, v9
	v_fmamk_f32 v29, v86, 0xbf7ba420, v71
	v_mul_f32_e32 v72, 0x3f763a35, v28
	v_add_f32_e32 v58, v102, v58
	v_add_f32_e32 v24, v62, v24
	;; [unrolled: 1-line block ×3, first 2 shown]
	v_fma_f32 v62, 0xbf7ba420, v86, -v71
	v_add_f32_e32 v25, v29, v25
	v_fmamk_f32 v29, v86, 0xbe8c1d8e, v72
	v_mul_f32_e32 v70, 0x3f2c7751, v28
	v_add_f32_e32 v58, v100, v58
	v_fma_f32 v71, 0xbe8c1d8e, v86, -v72
	v_add_f32_e32 v22, v62, v22
	v_mul_f32_e32 v62, 0xbeb8f4ab, v28
	v_add_f32_e32 v29, v29, v33
	v_fmamk_f32 v33, v86, 0x3f3d2fb0, v70
	v_mul_f32_e32 v72, 0xbf7ee86f, v28
	v_add_f32_e32 v30, v71, v30
	v_fmamk_f32 v71, v86, 0x3f6eb680, v62
	v_mul_f32_e32 v28, 0xbf06c442, v28
	v_add_f32_e32 v33, v33, v58
	v_fma_f32 v58, 0x3f6eb680, v86, -v62
	v_fmamk_f32 v62, v86, 0x3dbcf732, v72
	v_sub_f32_e32 v27, v49, v27
	v_fma_f32 v49, 0x3dbcf732, v86, -v72
	v_add_f32_e32 v38, v47, v38
	v_add_f32_e32 v51, v58, v51
	;; [unrolled: 1-line block ×3, first 2 shown]
	v_fmamk_f32 v61, v86, 0xbf59a7d5, v28
	v_mul_f32_e32 v47, 0xbf7ee86f, v27
	v_add_f32_e32 v49, v49, v60
	v_fma_f32 v28, 0xbf59a7d5, v86, -v28
	v_mul_f32_e32 v60, 0xbe3c28d5, v27
	v_add_f32_e32 v26, v61, v26
	v_fmamk_f32 v61, v38, 0x3dbcf732, v47
	v_fma_f32 v47, 0x3dbcf732, v38, -v47
	v_add_f32_e32 v23, v28, v23
	v_mul_f32_e32 v28, 0x3f763a35, v27
	v_fma_f32 v70, 0x3f3d2fb0, v86, -v70
	v_fmamk_f32 v62, v38, 0xbf7ba420, v60
	v_add_f32_e32 v9, v47, v9
	v_fma_f32 v47, 0xbf7ba420, v38, -v60
	v_add_f32_e32 v8, v61, v8
	v_fmamk_f32 v60, v38, 0xbe8c1d8e, v28
	v_mul_f32_e32 v61, 0x3eb8f4ab, v27
	v_fma_f32 v28, 0xbe8c1d8e, v38, -v28
	v_add_f32_e32 v11, v47, v11
	v_mul_f32_e32 v47, 0xbf65296c, v27
	v_add_f32_e32 v34, v70, v34
	v_add_f32_e32 v24, v62, v24
	;; [unrolled: 1-line block ×3, first 2 shown]
	v_fmamk_f32 v60, v38, 0x3f6eb680, v61
	v_add_f32_e32 v22, v28, v22
	v_fma_f32 v28, 0x3f6eb680, v38, -v61
	v_mul_f32_e32 v61, 0xbf06c442, v27
	v_fmamk_f32 v62, v38, 0x3ee437d1, v47
	v_fma_f32 v47, 0x3ee437d1, v38, -v47
	v_add_f32_e32 v59, v71, v59
	v_add_f32_e32 v29, v60, v29
	;; [unrolled: 1-line block ×3, first 2 shown]
	v_fmamk_f32 v30, v38, 0xbf59a7d5, v61
	v_fma_f32 v60, 0xbf59a7d5, v38, -v61
	v_add_f32_e32 v34, v47, v34
	v_mul_f32_e32 v47, 0x3f4c4adb, v27
	v_mul_f32_e32 v27, 0x3f2c7751, v27
	v_sub_f32_e32 v32, v90, v32
	v_add_f32_e32 v30, v30, v59
	v_add_f32_e32 v51, v60, v51
	v_fmamk_f32 v59, v38, 0xbf1a4643, v47
	v_fma_f32 v47, 0xbf1a4643, v38, -v47
	v_fmamk_f32 v60, v38, 0x3f3d2fb0, v27
	v_add_f32_e32 v37, v50, v37
	v_mul_f32_e32 v50, 0xbf763a35, v32
	v_fma_f32 v27, 0x3f3d2fb0, v38, -v27
	v_add_f32_e32 v38, v47, v49
	v_mul_f32_e32 v49, 0x3f06c442, v32
	v_add_f32_e32 v58, v59, v58
	v_fmamk_f32 v47, v37, 0xbe8c1d8e, v50
	v_add_f32_e32 v23, v27, v23
	v_fma_f32 v27, 0xbe8c1d8e, v37, -v50
	v_mul_f32_e32 v50, 0x3f2c7751, v32
	v_mul_f32_e32 v59, 0xbf65296c, v32
	v_add_f32_e32 v8, v47, v8
	v_fmamk_f32 v47, v37, 0xbf59a7d5, v49
	v_fma_f32 v49, 0xbf59a7d5, v37, -v49
	v_add_f32_e32 v9, v27, v9
	v_fmamk_f32 v27, v37, 0x3f3d2fb0, v50
	v_sub_f32_e32 v31, v46, v31
	v_add_f32_e32 v24, v47, v24
	v_add_f32_e32 v11, v49, v11
	v_fma_f32 v47, 0x3f3d2fb0, v37, -v50
	v_add_f32_e32 v25, v27, v25
	v_fmamk_f32 v27, v37, 0x3ee437d1, v59
	v_mul_f32_e32 v49, 0xbe3c28d5, v32
	v_fma_f32 v50, 0x3ee437d1, v37, -v59
	v_add_f32_e32 v22, v47, v22
	v_mul_f32_e32 v47, 0x3f7ee86f, v32
	v_add_f32_e32 v27, v27, v29
	v_fmamk_f32 v29, v37, 0xbf7ba420, v49
	v_fma_f32 v49, 0xbf7ba420, v37, -v49
	v_mul_f32_e32 v59, 0xbeb8f4ab, v32
	v_mul_f32_e32 v32, 0xbf4c4adb, v32
	v_add_f32_e32 v33, v62, v33
	v_add_f32_e32 v45, v45, v48
	;; [unrolled: 1-line block ×3, first 2 shown]
	v_fma_f32 v46, 0x3f6eb680, v37, -v59
	v_fmamk_f32 v49, v37, 0xbf1a4643, v32
	v_mul_f32_e32 v48, 0xbf4c4adb, v31
	v_fma_f32 v32, 0xbf1a4643, v37, -v32
	v_add_f32_e32 v26, v60, v26
	v_add_f32_e32 v28, v50, v28
	v_fmamk_f32 v50, v37, 0x3dbcf732, v47
	v_add_f32_e32 v29, v29, v33
	v_fma_f32 v33, 0x3dbcf732, v37, -v47
	v_fmamk_f32 v47, v37, 0x3f6eb680, v59
	v_add_f32_e32 v38, v46, v38
	v_mul_f32_e32 v37, 0x3f763a35, v31
	v_fmamk_f32 v46, v45, 0xbf1a4643, v48
	v_fma_f32 v48, 0xbf1a4643, v45, -v48
	v_add_f32_e32 v23, v32, v23
	v_mul_f32_e32 v32, 0xbeb8f4ab, v31
	v_add_f32_e32 v26, v49, v26
	v_fmamk_f32 v49, v45, 0xbe8c1d8e, v37
	v_add_f32_e32 v8, v46, v8
	v_add_f32_e32 v9, v48, v9
	v_fma_f32 v37, 0xbe8c1d8e, v45, -v37
	v_fmamk_f32 v46, v45, 0x3f6eb680, v32
	v_mul_f32_e32 v48, 0xbf06c442, v31
	v_fma_f32 v32, 0x3f6eb680, v45, -v32
	v_add_f32_e32 v30, v50, v30
	v_add_f32_e32 v11, v37, v11
	;; [unrolled: 1-line block ×3, first 2 shown]
	v_mul_f32_e32 v37, 0x3f7ee86f, v31
	v_fmamk_f32 v46, v45, 0xbf59a7d5, v48
	v_add_f32_e32 v22, v32, v22
	v_fma_f32 v32, 0xbf59a7d5, v45, -v48
	v_mul_f32_e32 v48, 0xbf2c7751, v31
	v_add_f32_e32 v33, v33, v51
	v_add_f32_e32 v24, v49, v24
	v_fmamk_f32 v49, v45, 0x3dbcf732, v37
	v_add_f32_e32 v27, v46, v27
	v_fma_f32 v37, 0x3dbcf732, v45, -v37
	v_add_f32_e32 v28, v32, v28
	v_fmamk_f32 v32, v45, 0x3f3d2fb0, v48
	v_fma_f32 v46, 0x3f3d2fb0, v45, -v48
	v_add_f32_e32 v43, v43, v44
	v_add_f32_e32 v34, v37, v34
	v_mul_f32_e32 v37, 0xbe3c28d5, v31
	v_add_f32_e32 v30, v32, v30
	v_mul_f32_e32 v31, 0x3f65296c, v31
	v_add_f32_e32 v32, v46, v33
	v_sub_f32_e32 v33, v42, v36
	v_fmamk_f32 v36, v45, 0xbf7ba420, v37
	v_fma_f32 v37, 0xbf7ba420, v45, -v37
	v_fmamk_f32 v42, v45, 0x3ee437d1, v31
	v_fma_f32 v31, 0x3ee437d1, v45, -v31
	v_mul_f32_e32 v44, 0xbf06c442, v33
	v_mul_f32_e32 v45, 0x3f4c4adb, v33
	v_add_f32_e32 v37, v37, v38
	v_add_f32_e32 v26, v42, v26
	v_mul_f32_e32 v42, 0x3f65296c, v33
	v_fmamk_f32 v38, v43, 0xbf59a7d5, v44
	v_add_f32_e32 v23, v31, v23
	v_fma_f32 v31, 0xbf59a7d5, v43, -v44
	v_mul_f32_e32 v44, 0xbf7ee86f, v33
	v_add_f32_e32 v29, v49, v29
	v_add_f32_e32 v8, v38, v8
	v_fmamk_f32 v38, v43, 0x3ee437d1, v42
	v_fma_f32 v42, 0x3ee437d1, v43, -v42
	v_add_f32_e32 v9, v31, v9
	v_fmamk_f32 v31, v43, 0x3dbcf732, v44
	v_add_f32_e32 v47, v47, v58
	v_add_f32_e32 v24, v38, v24
	;; [unrolled: 1-line block ×3, first 2 shown]
	v_fma_f32 v38, 0x3dbcf732, v43, -v44
	v_add_f32_e32 v25, v31, v25
	v_fmamk_f32 v31, v43, 0xbf1a4643, v45
	v_mul_f32_e32 v42, 0xbeb8f4ab, v33
	v_fma_f32 v44, 0xbf1a4643, v43, -v45
	v_add_f32_e32 v22, v38, v22
	v_mul_f32_e32 v38, 0xbe3c28d5, v33
	v_add_f32_e32 v27, v31, v27
	v_fmamk_f32 v31, v43, 0x3f6eb680, v42
	v_mul_f32_e32 v45, 0x3f2c7751, v33
	v_add_f32_e32 v36, v36, v47
	v_add_f32_e32 v28, v44, v28
	v_fmamk_f32 v44, v43, 0xbf7ba420, v38
	v_add_f32_e32 v29, v31, v29
	v_fma_f32 v31, 0xbf7ba420, v43, -v38
	v_fmamk_f32 v38, v43, 0x3f3d2fb0, v45
	v_mul_f32_e32 v33, 0xbf763a35, v33
	v_add_f32_e32 v39, v39, v41
	v_fma_f32 v42, 0x3f6eb680, v43, -v42
	v_add_f32_e32 v31, v31, v32
	v_sub_f32_e32 v32, v40, v35
	v_fma_f32 v35, 0x3f3d2fb0, v43, -v45
	v_add_f32_e32 v36, v38, v36
	v_fmamk_f32 v38, v43, 0xbe8c1d8e, v33
	v_fma_f32 v33, 0xbe8c1d8e, v43, -v33
	v_mul_f32_e32 v40, 0xbe3c28d5, v32
	v_add_f32_e32 v35, v35, v37
	v_mul_f32_e32 v37, 0x3eb8f4ab, v32
	v_add_f32_e32 v26, v38, v26
	v_add_f32_e32 v23, v33, v23
	v_fmamk_f32 v38, v39, 0xbf7ba420, v40
	v_fma_f32 v40, 0xbf7ba420, v39, -v40
	v_mul_f32_e32 v33, 0xbf06c442, v32
	v_fmamk_f32 v41, v39, 0x3f6eb680, v37
	v_add_f32_e32 v34, v42, v34
	v_add_f32_e32 v86, v38, v8
	v_fma_f32 v8, 0x3f6eb680, v39, -v37
	v_add_f32_e32 v87, v40, v9
	v_fmamk_f32 v9, v39, 0xbf59a7d5, v33
	v_add_f32_e32 v90, v41, v24
	v_mul_f32_e32 v24, 0x3f2c7751, v32
	v_fma_f32 v33, 0xbf59a7d5, v39, -v33
	v_add_f32_e32 v94, v8, v11
	v_mul_f32_e32 v8, 0xbf4c4adb, v32
	v_add_f32_e32 v98, v9, v25
	v_fmamk_f32 v9, v39, 0x3f3d2fb0, v24
	v_add_f32_e32 v100, v33, v22
	v_mul_f32_e32 v22, 0x3f65296c, v32
	v_fma_f32 v11, 0x3f3d2fb0, v39, -v24
	v_fmamk_f32 v24, v39, 0xbf1a4643, v8
	v_fma_f32 v8, 0xbf1a4643, v39, -v8
	v_add_f32_e32 v30, v44, v30
	v_add_f32_e32 v101, v9, v27
	v_fmamk_f32 v9, v39, 0x3ee437d1, v22
	v_add_f32_e32 v2, v2, v110
	v_add_f32_e32 v110, v8, v34
	v_mul_f32_e32 v8, 0x3f7ee86f, v32
	v_add_f32_e32 v102, v11, v28
	v_mul_f32_e32 v11, 0xbf763a35, v32
	v_add_f32_e32 v111, v9, v30
	v_fma_f32 v9, 0x3ee437d1, v39, -v22
	v_add_f32_e32 v109, v24, v29
	v_fmamk_f32 v24, v39, 0x3dbcf732, v8
	v_fma_f32 v8, 0x3dbcf732, v39, -v8
	v_fmamk_f32 v22, v39, 0xbe8c1d8e, v11
	v_add_nc_u32_e32 v48, 0x400, v126
	v_fma_f32 v11, 0xbe8c1d8e, v39, -v11
	v_add_f32_e32 v112, v9, v31
	v_add_nc_u32_e32 v9, 0x200, v126
	v_add_f32_e32 v2, v2, v116
	v_add_f32_e32 v116, v8, v23
	v_lshlrev_b32_e32 v8, 2, v128
	v_add_f32_e32 v113, v22, v36
	v_add_f32_e32 v115, v24, v26
	s_waitcnt lgkmcnt(0)
	s_barrier
	buffer_gl0_inv
	ds_read2_b32 v[22:23], v126 offset0:119 offset1:136
	ds_read2_b32 v[24:25], v126 offset0:221 offset1:238
	;; [unrolled: 1-line block ×6, first 2 shown]
	v_lshlrev_b32_e32 v9, 2, v129
	v_add_f32_e32 v114, v11, v35
	v_lshlrev_b32_e32 v11, 2, v130
	v_add_nc_u32_e32 v49, 0x800, v126
	v_add3_u32 v60, 0, v8, v131
	v_add3_u32 v61, 0, v9, v131
	ds_read2_b32 v[34:35], v126 offset0:153 offset1:170
	v_add3_u32 v62, 0, v11, v131
	ds_read2_b32 v[36:37], v48 offset0:135 offset1:152
	ds_read2_b32 v[42:43], v48 offset0:33 offset1:50
	;; [unrolled: 1-line block ×3, first 2 shown]
	ds_read_b32 v70, v106
	ds_read_b32 v71, v127
	;; [unrolled: 1-line block ×5, first 2 shown]
	ds_read2_b32 v[44:45], v126 offset0:187 offset1:204
	ds_read2_b32 v[46:47], v48 offset0:169 offset1:186
	;; [unrolled: 1-line block ×5, first 2 shown]
	v_add_f32_e32 v2, v2, v122
	s_waitcnt lgkmcnt(0)
	s_barrier
	buffer_gl0_inv
	v_add_f32_e32 v2, v2, v123
	v_add_f32_e32 v2, v2, v134
	;; [unrolled: 1-line block ×3, first 2 shown]
	ds_write2_b32 v56, v2, v64 offset1:7
	ds_write2_b32 v56, v88, v89 offset0:14 offset1:21
	ds_write2_b32 v56, v93, v95 offset0:28 offset1:35
	;; [unrolled: 1-line block ×7, first 2 shown]
	ds_write_b32 v56, v63 offset:448
	ds_write2_b32 v57, v108, v86 offset1:7
	ds_write2_b32 v57, v90, v98 offset0:14 offset1:21
	ds_write2_b32 v57, v101, v109 offset0:28 offset1:35
	;; [unrolled: 1-line block ×7, first 2 shown]
	ds_write_b32 v57, v87 offset:448
	s_and_saveexec_b32 s1, s0
	s_cbranch_execz .LBB0_20
; %bb.19:
	v_add_f32_e32 v2, v0, v84
	v_sub_f32_e32 v55, v85, v55
	v_add_f32_e32 v56, v84, v53
	v_sub_f32_e32 v21, v54, v21
	v_add_f32_e32 v57, v83, v82
	v_add_f32_e32 v2, v2, v83
	v_mul_f32_e32 v54, 0xbeb8f4ab, v55
	v_mul_f32_e32 v63, 0xbf2c7751, v55
	;; [unrolled: 1-line block ×4, first 2 shown]
	v_add_f32_e32 v2, v2, v81
	v_mul_f32_e32 v83, 0xbf763a35, v55
	v_mul_f32_e32 v84, 0xbf4c4adb, v55
	;; [unrolled: 1-line block ×4, first 2 shown]
	v_add_f32_e32 v2, v2, v80
	v_mul_f32_e32 v86, 0xbf2c7751, v21
	v_mul_f32_e32 v87, 0xbf7ee86f, v21
	v_fmamk_f32 v91, v56, 0x3f6eb680, v54
	v_fma_f32 v54, 0x3f6eb680, v56, -v54
	v_add_f32_e32 v2, v2, v79
	v_fmamk_f32 v92, v56, 0x3f3d2fb0, v63
	v_fma_f32 v63, 0x3f3d2fb0, v56, -v63
	v_mul_f32_e32 v89, 0xbe3c28d5, v21
	v_mul_f32_e32 v90, 0x3f06c442, v21
	v_add_f32_e32 v2, v2, v78
	v_fmamk_f32 v93, v56, 0x3ee437d1, v64
	v_fma_f32 v64, 0x3ee437d1, v56, -v64
	v_fmamk_f32 v94, v56, 0x3dbcf732, v73
	v_fma_f32 v73, 0x3dbcf732, v56, -v73
	v_add_f32_e32 v2, v2, v68
	v_fmamk_f32 v95, v56, 0xbe8c1d8e, v83
	v_fma_f32 v83, 0xbe8c1d8e, v56, -v83
	v_fmamk_f32 v96, v56, 0xbf1a4643, v84
	v_fma_f32 v84, 0xbf1a4643, v56, -v84
	;; [unrolled: 5-line block ×4, first 2 shown]
	v_add_f32_e32 v2, v2, v69
	v_add_f32_e32 v54, v0, v54
	;; [unrolled: 1-line block ×8, first 2 shown]
	v_fma_f32 v86, 0xbf7ba420, v57, -v89
	v_mul_f32_e32 v87, 0x3f763a35, v21
	v_add_f32_e32 v2, v2, v76
	v_mul_f32_e32 v88, 0xbf4c4adb, v21
	v_add_f32_e32 v84, v0, v84
	v_add_f32_e32 v73, v86, v73
	v_fmamk_f32 v86, v57, 0xbe8c1d8e, v87
	v_add_f32_e32 v2, v2, v75
	v_fma_f32 v87, 0xbe8c1d8e, v57, -v87
	v_sub_f32_e32 v15, v52, v15
	v_fmamk_f32 v100, v57, 0xbf1a4643, v88
	v_fma_f32 v88, 0xbf1a4643, v57, -v88
	v_add_f32_e32 v2, v2, v77
	v_add_f32_e32 v91, v0, v91
	;; [unrolled: 1-line block ×11, first 2 shown]
	v_fmamk_f32 v53, v57, 0xbf7ba420, v89
	v_fma_f32 v89, 0xbf59a7d5, v57, -v90
	v_add_f32_e32 v85, v0, v85
	v_add_f32_e32 v98, v0, v98
	;; [unrolled: 1-line block ×5, first 2 shown]
	v_mul_f32_e32 v89, 0x3f65296c, v21
	v_mul_f32_e32 v21, 0x3eb8f4ab, v21
	v_add_f32_e32 v77, v81, v77
	v_mul_f32_e32 v81, 0xbf65296c, v15
	v_add_f32_e32 v55, v56, v91
	v_fmamk_f32 v52, v57, 0x3ee437d1, v89
	v_fma_f32 v87, 0x3ee437d1, v57, -v89
	v_fmamk_f32 v89, v57, 0x3f6eb680, v21
	v_fma_f32 v21, 0x3f6eb680, v57, -v21
	v_add_f32_e32 v64, v88, v64
	v_fmamk_f32 v88, v57, 0xbf59a7d5, v90
	v_add_f32_e32 v57, v87, v85
	v_add_f32_e32 v85, v89, v98
	v_fmamk_f32 v87, v77, 0x3ee437d1, v81
	v_mul_f32_e32 v89, 0xbf4c4adb, v15
	v_add_f32_e32 v0, v21, v0
	v_fma_f32 v21, 0x3ee437d1, v77, -v81
	v_mul_f32_e32 v81, 0x3e3c28d5, v15
	v_add_f32_e32 v56, v99, v92
	v_add_f32_e32 v82, v100, v93
	v_add_f32_e32 v55, v87, v55
	v_fmamk_f32 v87, v77, 0xbf1a4643, v89
	v_fma_f32 v89, 0xbf1a4643, v77, -v89
	v_add_f32_e32 v21, v21, v54
	v_fmamk_f32 v54, v77, 0xbf7ba420, v81
	v_mul_f32_e32 v90, 0x3f763a35, v15
	v_fma_f32 v81, 0xbf7ba420, v77, -v81
	v_add_f32_e32 v53, v53, v94
	v_add_f32_e32 v56, v87, v56
	;; [unrolled: 1-line block ×4, first 2 shown]
	v_fmamk_f32 v82, v77, 0xbe8c1d8e, v90
	v_mul_f32_e32 v87, 0x3f2c7751, v15
	v_fma_f32 v89, 0xbe8c1d8e, v77, -v90
	v_add_f32_e32 v64, v81, v64
	v_mul_f32_e32 v81, 0xbeb8f4ab, v15
	v_add_f32_e32 v53, v82, v53
	v_fmamk_f32 v82, v77, 0x3f3d2fb0, v87
	v_add_f32_e32 v73, v89, v73
	v_fma_f32 v87, 0x3f3d2fb0, v77, -v87
	v_fmamk_f32 v89, v77, 0x3f6eb680, v81
	v_mul_f32_e32 v90, 0xbf7ee86f, v15
	v_fma_f32 v81, 0x3f6eb680, v77, -v81
	v_mul_f32_e32 v15, 0xbf06c442, v15
	v_sub_f32_e32 v13, v13, v14
	v_add_f32_e32 v83, v87, v83
	v_fmamk_f32 v87, v77, 0x3dbcf732, v90
	v_add_f32_e32 v81, v81, v84
	v_fma_f32 v14, 0x3dbcf732, v77, -v90
	v_fmamk_f32 v84, v77, 0xbf59a7d5, v15
	v_add_f32_e32 v75, v80, v75
	v_mul_f32_e32 v80, 0xbf7ee86f, v13
	v_fma_f32 v15, 0xbf59a7d5, v77, -v15
	v_mul_f32_e32 v77, 0xbe3c28d5, v13
	v_add_f32_e32 v14, v14, v57
	v_add_f32_e32 v57, v84, v85
	v_fmamk_f32 v84, v75, 0x3dbcf732, v80
	v_fma_f32 v80, 0x3dbcf732, v75, -v80
	v_add_f32_e32 v0, v15, v0
	v_mul_f32_e32 v15, 0x3f763a35, v13
	v_fmamk_f32 v85, v75, 0xbf7ba420, v77
	v_fma_f32 v77, 0xbf7ba420, v75, -v77
	v_add_f32_e32 v88, v88, v95
	v_add_f32_e32 v55, v84, v55
	;; [unrolled: 1-line block ×3, first 2 shown]
	v_fmamk_f32 v80, v75, 0xbe8c1d8e, v15
	v_mul_f32_e32 v84, 0x3eb8f4ab, v13
	v_fma_f32 v15, 0xbe8c1d8e, v75, -v15
	v_add_f32_e32 v63, v77, v63
	v_mul_f32_e32 v77, 0xbf65296c, v13
	v_add_f32_e32 v82, v82, v88
	v_add_f32_e32 v56, v85, v56
	v_add_f32_e32 v54, v80, v54
	v_fmamk_f32 v80, v75, 0x3f6eb680, v84
	v_add_f32_e32 v15, v15, v64
	v_fma_f32 v64, 0x3f6eb680, v75, -v84
	v_mul_f32_e32 v84, 0xbf06c442, v13
	v_fmamk_f32 v85, v75, 0x3ee437d1, v77
	v_fma_f32 v77, 0x3ee437d1, v75, -v77
	v_add_f32_e32 v52, v52, v97
	v_add_f32_e32 v53, v80, v53
	v_sub_f32_e32 v10, v10, v12
	v_add_f32_e32 v80, v85, v82
	v_fma_f32 v82, 0xbf59a7d5, v75, -v84
	v_add_f32_e32 v77, v77, v83
	v_mul_f32_e32 v83, 0x3f4c4adb, v13
	v_mul_f32_e32 v13, 0x3f2c7751, v13
	v_add_f32_e32 v52, v87, v52
	v_add_f32_e32 v81, v82, v81
	;; [unrolled: 1-line block ×3, first 2 shown]
	v_fmamk_f32 v12, v75, 0xbf1a4643, v83
	v_fma_f32 v82, 0xbf1a4643, v75, -v83
	v_fmamk_f32 v83, v75, 0x3f3d2fb0, v13
	v_mul_f32_e32 v79, 0xbf763a35, v10
	v_fma_f32 v13, 0x3f3d2fb0, v75, -v13
	v_add_f32_e32 v64, v64, v73
	v_fmamk_f32 v73, v75, 0xbf59a7d5, v84
	v_add_f32_e32 v12, v12, v52
	v_add_f32_e32 v52, v83, v57
	v_fmamk_f32 v57, v76, 0xbe8c1d8e, v79
	v_mul_f32_e32 v75, 0x3f06c442, v10
	v_add_f32_e32 v0, v13, v0
	v_fma_f32 v13, 0xbe8c1d8e, v76, -v79
	v_mul_f32_e32 v79, 0x3f2c7751, v10
	v_add_f32_e32 v14, v82, v14
	v_add_f32_e32 v55, v57, v55
	v_fmamk_f32 v57, v76, 0xbf59a7d5, v75
	v_fma_f32 v75, 0xbf59a7d5, v76, -v75
	v_add_f32_e32 v13, v13, v21
	v_fmamk_f32 v21, v76, 0x3f3d2fb0, v79
	v_mul_f32_e32 v82, 0xbf65296c, v10
	v_add_f32_e32 v56, v57, v56
	v_add_f32_e32 v57, v75, v63
	v_mul_f32_e32 v75, 0xbe3c28d5, v10
	v_add_f32_e32 v21, v21, v54
	v_fmamk_f32 v54, v76, 0x3ee437d1, v82
	v_fma_f32 v63, 0x3f3d2fb0, v76, -v79
	v_fma_f32 v79, 0x3ee437d1, v76, -v82
	v_mul_f32_e32 v82, 0xbeb8f4ab, v10
	v_sub_f32_e32 v6, v6, v7
	v_add_f32_e32 v53, v54, v53
	v_fmamk_f32 v54, v76, 0xbf7ba420, v75
	v_fma_f32 v75, 0xbf7ba420, v76, -v75
	v_add_f32_e32 v15, v63, v15
	v_mul_f32_e32 v63, 0x3f7ee86f, v10
	v_mul_f32_e32 v10, 0xbf4c4adb, v10
	v_fma_f32 v7, 0x3f6eb680, v76, -v82
	v_add_f32_e32 v75, v75, v77
	v_fmamk_f32 v77, v76, 0x3f6eb680, v82
	v_add_f32_e32 v74, v78, v74
	v_mul_f32_e32 v78, 0xbf4c4adb, v6
	v_add_f32_e32 v7, v7, v14
	v_add_f32_e32 v86, v86, v96
	;; [unrolled: 1-line block ×3, first 2 shown]
	v_fmamk_f32 v77, v76, 0xbf1a4643, v10
	v_fma_f32 v10, 0xbf1a4643, v76, -v10
	v_add_f32_e32 v64, v79, v64
	v_fmamk_f32 v79, v76, 0x3dbcf732, v63
	v_fma_f32 v63, 0x3dbcf732, v76, -v63
	v_add_f32_e32 v14, v77, v52
	v_mul_f32_e32 v52, 0x3f763a35, v6
	v_fmamk_f32 v76, v74, 0xbf1a4643, v78
	v_fma_f32 v77, 0xbf1a4643, v74, -v78
	v_add_f32_e32 v0, v10, v0
	v_mul_f32_e32 v10, 0xbeb8f4ab, v6
	v_fmamk_f32 v78, v74, 0xbe8c1d8e, v52
	v_fma_f32 v52, 0xbe8c1d8e, v74, -v52
	v_add_f32_e32 v86, v89, v86
	v_add_f32_e32 v55, v76, v55
	;; [unrolled: 1-line block ×3, first 2 shown]
	v_fmamk_f32 v76, v74, 0x3f6eb680, v10
	v_mul_f32_e32 v77, 0xbf06c442, v6
	v_fma_f32 v10, 0x3f6eb680, v74, -v10
	v_add_f32_e32 v52, v52, v57
	v_mul_f32_e32 v57, 0x3f7ee86f, v6
	v_add_f32_e32 v73, v73, v86
	v_add_f32_e32 v56, v78, v56
	v_add_f32_e32 v21, v76, v21
	v_fmamk_f32 v76, v74, 0xbf59a7d5, v77
	v_add_f32_e32 v10, v10, v15
	v_fma_f32 v15, 0xbf59a7d5, v74, -v77
	v_mul_f32_e32 v77, 0xbf2c7751, v6
	v_fmamk_f32 v78, v74, 0x3dbcf732, v57
	v_fma_f32 v57, 0x3dbcf732, v74, -v57
	v_add_f32_e32 v73, v79, v73
	v_add_f32_e32 v15, v15, v64
	v_fmamk_f32 v64, v74, 0x3f3d2fb0, v77
	v_sub_f32_e32 v4, v4, v5
	v_add_f32_e32 v57, v57, v75
	v_mul_f32_e32 v75, 0xbe3c28d5, v6
	v_mul_f32_e32 v6, 0x3f65296c, v6
	v_add_f32_e32 v64, v64, v73
	v_add_f32_e32 v68, v68, v69
	v_mul_f32_e32 v69, 0xbf06c442, v4
	v_fmamk_f32 v5, v74, 0xbf7ba420, v75
	v_fma_f32 v73, 0xbf7ba420, v74, -v75
	v_fmamk_f32 v75, v74, 0x3ee437d1, v6
	v_fma_f32 v6, 0x3ee437d1, v74, -v6
	v_add_f32_e32 v53, v76, v53
	v_add_f32_e32 v5, v5, v12
	;; [unrolled: 1-line block ×4, first 2 shown]
	v_fmamk_f32 v14, v68, 0xbf59a7d5, v69
	v_mul_f32_e32 v73, 0x3f65296c, v4
	v_add_f32_e32 v0, v6, v0
	v_fma_f32 v6, 0xbf59a7d5, v68, -v69
	v_mul_f32_e32 v69, 0xbf7ee86f, v4
	v_add_f32_e32 v14, v14, v55
	v_fmamk_f32 v55, v68, 0x3ee437d1, v73
	v_fma_f32 v76, 0x3f3d2fb0, v74, -v77
	v_fma_f32 v73, 0x3ee437d1, v68, -v73
	v_add_f32_e32 v6, v6, v13
	v_fmamk_f32 v13, v68, 0x3dbcf732, v69
	v_mul_f32_e32 v74, 0x3f4c4adb, v4
	v_add_f32_e32 v55, v55, v56
	v_fma_f32 v56, 0x3dbcf732, v68, -v69
	v_add_f32_e32 v54, v54, v80
	v_add_f32_e32 v63, v63, v81
	;; [unrolled: 1-line block ×4, first 2 shown]
	v_fmamk_f32 v21, v68, 0xbf1a4643, v74
	v_fma_f32 v69, 0xbf1a4643, v68, -v74
	v_mul_f32_e32 v73, 0xbeb8f4ab, v4
	v_add_f32_e32 v10, v56, v10
	v_mul_f32_e32 v56, 0xbe3c28d5, v4
	v_mul_f32_e32 v74, 0x3f2c7751, v4
	v_add_f32_e32 v54, v78, v54
	v_add_f32_e32 v63, v76, v63
	;; [unrolled: 1-line block ×4, first 2 shown]
	v_fmamk_f32 v53, v68, 0x3f6eb680, v73
	v_fma_f32 v69, 0x3f6eb680, v68, -v73
	v_fmamk_f32 v73, v68, 0xbf7ba420, v56
	v_fma_f32 v56, 0xbf7ba420, v68, -v56
	v_sub_f32_e32 v1, v1, v3
	v_mul_f32_e32 v3, 0xbf763a35, v4
	v_fma_f32 v4, 0x3f3d2fb0, v68, -v74
	v_add_f32_e32 v53, v53, v54
	v_add_f32_e32 v54, v69, v57
	v_add_f32_e32 v57, v73, v64
	v_fmamk_f32 v64, v68, 0x3f3d2fb0, v74
	v_add_f32_e32 v56, v56, v63
	v_add_f32_e32 v63, v66, v67
	v_fmamk_f32 v66, v68, 0xbe8c1d8e, v3
	v_add_f32_e32 v4, v4, v7
	v_fma_f32 v3, 0xbe8c1d8e, v68, -v3
	v_mul_f32_e32 v7, 0x3eb8f4ab, v1
	v_add_f32_e32 v5, v64, v5
	v_mul_f32_e32 v64, 0xbe3c28d5, v1
	v_add_f32_e32 v12, v66, v12
	v_add_f32_e32 v0, v3, v0
	v_fmamk_f32 v3, v63, 0x3f6eb680, v7
	v_mul_f32_e32 v66, 0xbf06c442, v1
	v_fmamk_f32 v67, v63, 0xbf7ba420, v64
	v_fma_f32 v64, 0xbf7ba420, v63, -v64
	v_fma_f32 v7, 0x3f6eb680, v63, -v7
	v_add_f32_e32 v3, v3, v55
	v_mul_f32_e32 v55, 0x3f2c7751, v1
	v_add_f32_e32 v14, v67, v14
	v_add_f32_e32 v6, v64, v6
	v_fmamk_f32 v64, v63, 0xbf59a7d5, v66
	v_fma_f32 v66, 0xbf59a7d5, v63, -v66
	v_fmamk_f32 v67, v63, 0x3f3d2fb0, v55
	v_fma_f32 v55, 0x3f3d2fb0, v63, -v55
	v_add_f32_e32 v7, v7, v52
	v_mul_f32_e32 v52, 0xbf4c4adb, v1
	v_add_f32_e32 v13, v64, v13
	v_add_f32_e32 v10, v66, v10
	;; [unrolled: 1-line block ×3, first 2 shown]
	v_mov_b32_e32 v55, 2
	v_fmamk_f32 v64, v63, 0xbf1a4643, v52
	v_mul_f32_e32 v66, 0x3f65296c, v1
	v_fma_f32 v52, 0xbf1a4643, v63, -v52
	v_add_f32_e32 v21, v67, v21
	v_lshlrev_b32_sdwa v55, v55, v65 dst_sel:DWORD dst_unused:UNUSED_PAD src0_sel:DWORD src1_sel:BYTE_0
	v_add_f32_e32 v53, v64, v53
	v_fmamk_f32 v64, v63, 0x3ee437d1, v66
	v_add_f32_e32 v52, v52, v54
	v_mul_f32_e32 v54, 0xbf763a35, v1
	v_mul_f32_e32 v1, 0x3f7ee86f, v1
	v_add3_u32 v55, 0, v55, v131
	v_add_f32_e32 v57, v64, v57
	v_fma_f32 v66, 0x3ee437d1, v63, -v66
	v_fmamk_f32 v64, v63, 0xbe8c1d8e, v54
	v_fma_f32 v54, 0xbe8c1d8e, v63, -v54
	v_fmamk_f32 v65, v63, 0x3dbcf732, v1
	v_fma_f32 v1, 0x3dbcf732, v63, -v1
	v_add_nc_u32_e32 v63, 0x400, v55
	v_add_f32_e32 v5, v64, v5
	v_add_f32_e32 v4, v54, v4
	v_add_nc_u32_e32 v54, 0x800, v55
	v_add_f32_e32 v12, v65, v12
	v_add_f32_e32 v0, v1, v0
	;; [unrolled: 1-line block ×3, first 2 shown]
	ds_write2_b32 v63, v2, v14 offset0:220 offset1:227
	ds_write2_b32 v63, v3, v13 offset0:234 offset1:241
	ds_write2_b32 v63, v21, v53 offset0:248 offset1:255
	ds_write2_b32 v54, v57, v5 offset0:6 offset1:13
	ds_write2_b32 v54, v12, v0 offset0:20 offset1:27
	ds_write2_b32 v54, v4, v56 offset0:34 offset1:41
	ds_write2_b32 v54, v52, v15 offset0:48 offset1:55
	ds_write2_b32 v54, v10, v7 offset0:62 offset1:69
	ds_write_b32 v55, v6 offset:2352
.LBB0_20:
	s_or_b32 exec_lo, exec_lo, s1
	s_waitcnt lgkmcnt(0)
	s_barrier
	buffer_gl0_inv
	s_and_saveexec_b32 s0, vcc_lo
	s_cbranch_execz .LBB0_22
; %bb.21:
	v_add_nc_u32_e32 v52, 0x198, v20
	v_mov_b32_e32 v53, 0
	v_mul_lo_u32 v94, s4, v19
	v_add_nc_u32_e32 v73, 0x400, v126
	v_add_nc_u32_e32 v95, 0x800, v126
	v_add_nc_u32_e32 v96, 0x200, v126
	v_lshlrev_b64 v[0:1], 3, v[52:53]
	v_add_nc_u32_e32 v52, 0x154, v20
	v_mov_b32_e32 v12, v53
	v_mov_b32_e32 v10, v53
	v_mov_b32_e32 v21, v53
	v_lshlrev_b64 v[16:17], 3, v[16:17]
	v_lshlrev_b64 v[13:14], 3, v[52:53]
	v_add_co_u32 v0, vcc_lo, s12, v0
	v_lshlrev_b64 v[11:12], 3, v[11:12]
	v_add_co_ci_u32_e32 v1, vcc_lo, s13, v1, vcc_lo
	v_add_co_u32 v13, vcc_lo, s12, v13
	v_lshlrev_b64 v[63:64], 3, v[9:10]
	v_add_co_ci_u32_e32 v14, vcc_lo, s13, v14, vcc_lo
	s_clause 0x1
	global_load_dwordx4 v[4:7], v[0:1], off offset:896
	global_load_dwordx4 v[0:3], v[0:1], off offset:912
	v_add_co_u32 v11, vcc_lo, s12, v11
	v_add_co_ci_u32_e32 v12, vcc_lo, s13, v12, vcc_lo
	s_clause 0x1
	global_load_dwordx4 v[54:57], v[13:14], off offset:896
	global_load_dwordx4 v[74:77], v[13:14], off offset:912
	v_add_co_u32 v13, vcc_lo, s12, v63
	v_add_co_ci_u32_e32 v14, vcc_lo, s13, v64, vcc_lo
	s_clause 0x3
	global_load_dwordx4 v[78:81], v[11:12], off offset:896
	global_load_dwordx4 v[82:85], v[11:12], off offset:912
	;; [unrolled: 1-line block ×4, first 2 shown]
	v_mov_b32_e32 v9, v53
	v_lshlrev_b32_e32 v52, 2, v125
	v_lshlrev_b64 v[20:21], 3, v[20:21]
	v_mul_lo_u32 v63, s5, v18
	v_mad_u64_u32 v[64:65], null, s4, v18, 0
	v_lshlrev_b64 v[8:9], 3, v[8:9]
	v_lshlrev_b64 v[52:53], 3, v[52:53]
	v_add_co_u32 v8, vcc_lo, s12, v8
	v_add_co_ci_u32_e32 v9, vcc_lo, s13, v9, vcc_lo
	s_clause 0x1
	global_load_dwordx4 v[12:15], v[8:9], off offset:896
	global_load_dwordx4 v[8:11], v[8:9], off offset:912
	v_add_co_u32 v20, vcc_lo, s12, v20
	v_add_co_ci_u32_e32 v21, vcc_lo, s13, v21, vcc_lo
	v_add_co_u32 v52, vcc_lo, s12, v52
	v_add_co_ci_u32_e32 v53, vcc_lo, s13, v53, vcc_lo
	ds_read2_b32 v[66:67], v126 offset0:221 offset1:238
	ds_read2_b32 v[18:19], v126 offset0:85 offset1:102
	;; [unrolled: 1-line block ×13, first 2 shown]
	v_add3_u32 v65, v65, v94, v63
	s_clause 0x3
	global_load_dwordx4 v[94:97], v[20:21], off offset:912
	global_load_dwordx4 v[98:101], v[20:21], off offset:896
	;; [unrolled: 1-line block ×4, first 2 shown]
	ds_read_b32 v62, v62
	ds_read_b32 v61, v61
	;; [unrolled: 1-line block ×3, first 2 shown]
	v_lshlrev_b64 v[64:65], 3, v[64:65]
	s_waitcnt vmcnt(13)
	v_mul_f32_e32 v20, v24, v5
	v_mul_f32_e32 v21, v51, v7
	s_waitcnt vmcnt(12)
	v_mul_f32_e32 v52, v49, v3
	v_mul_f32_e32 v53, v28, v1
	s_waitcnt lgkmcnt(9)
	v_mul_f32_e32 v1, v117, v1
	v_mul_f32_e32 v5, v66, v5
	;; [unrolled: 1-line block ×4, first 2 shown]
	v_fmac_f32_e32 v21, v114, v6
	v_fmac_f32_e32 v53, v117, v0
	v_fma_f32 v28, v28, v0, -v1
	v_fma_f32 v0, v24, v4, -v5
	;; [unrolled: 1-line block ×3, first 2 shown]
	s_waitcnt vmcnt(11)
	v_mul_f32_e32 v49, v50, v57
	s_waitcnt vmcnt(10)
	v_mul_f32_e32 v114, v47, v75
	v_fmac_f32_e32 v20, v66, v4
	v_fmac_f32_e32 v52, v116, v2
	v_fma_f32 v6, v51, v6, -v7
	v_mul_f32_e32 v4, v45, v55
	v_mul_f32_e32 v66, v48, v77
	s_waitcnt lgkmcnt(8)
	v_mul_f32_e32 v2, v120, v75
	v_mul_f32_e32 v3, v112, v55
	;; [unrolled: 1-line block ×3, first 2 shown]
	s_waitcnt vmcnt(9)
	v_mul_f32_e32 v7, v44, v79
	v_mul_f32_e32 v55, v43, v81
	s_waitcnt vmcnt(8)
	v_mul_f32_e32 v75, v41, v85
	s_waitcnt lgkmcnt(7)
	v_mul_f32_e32 v51, v122, v81
	v_mul_f32_e32 v77, v111, v79
	s_waitcnt lgkmcnt(6)
	v_mul_f32_e32 v79, v129, v85
	s_waitcnt vmcnt(6)
	v_mul_f32_e32 v81, v35, v91
	v_mul_f32_e32 v85, v40, v89
	;; [unrolled: 1-line block ×3, first 2 shown]
	v_fmac_f32_e32 v49, v113, v56
	v_fmac_f32_e32 v114, v120, v74
	v_mul_f32_e32 v1, v113, v57
	v_mul_f32_e32 v91, v69, v91
	v_sub_f32_e32 v125, v20, v21
	v_add_f32_e32 v139, v21, v53
	v_add_f32_e32 v142, v6, v28
	v_sub_f32_e32 v143, v20, v52
	v_sub_f32_e32 v145, v21, v20
	v_add_f32_e32 v147, v20, v52
	v_add_f32_e32 v150, v0, v24
	v_add_f32_e32 v20, v20, v19
	v_add_f32_e32 v151, v39, v0
	v_fmac_f32_e32 v4, v112, v54
	v_fmac_f32_e32 v66, v115, v76
	v_fma_f32 v47, v47, v74, -v2
	v_fma_f32 v45, v45, v54, -v3
	;; [unrolled: 1-line block ×3, first 2 shown]
	v_fmac_f32_e32 v81, v69, v90
	v_fma_f32 v69, v40, v88, -v89
	v_add_f32_e32 v40, v49, v114
	v_mul_f32_e32 v57, v46, v83
	v_mul_f32_e32 v63, v119, v83
	v_sub_f32_e32 v138, v0, v24
	v_sub_f32_e32 v140, v0, v6
	;; [unrolled: 1-line block ×4, first 2 shown]
	v_fma_f32 v50, v50, v56, -v1
	v_fmac_f32_e32 v75, v129, v84
	v_fma_f32 v76, v41, v84, -v79
	v_fma_f32 v1, -0.5, v139, v19
	v_fma_f32 v0, -0.5, v142, v39
	;; [unrolled: 1-line block ×4, first 2 shown]
	v_add_f32_e32 v19, v21, v20
	v_add_f32_e32 v20, v151, v6
	v_sub_f32_e32 v21, v4, v49
	v_sub_f32_e32 v39, v66, v114
	;; [unrolled: 1-line block ×3, first 2 shown]
	v_fma_f32 v41, -0.5, v40, v18
	v_mul_f32_e32 v83, v42, v93
	v_mul_f32_e32 v116, v37, v87
	;; [unrolled: 1-line block ×3, first 2 shown]
	s_waitcnt lgkmcnt(5)
	v_mul_f32_e32 v87, v131, v87
	v_sub_f32_e32 v137, v6, v28
	v_sub_f32_e32 v141, v24, v28
	v_sub_f32_e32 v149, v28, v24
	v_fmac_f32_e32 v7, v111, v78
	v_fmac_f32_e32 v57, v119, v82
	v_fma_f32 v43, v43, v80, -v51
	v_fma_f32 v46, v46, v82, -v63
	;; [unrolled: 1-line block ×3, first 2 shown]
	v_fmac_f32_e32 v85, v128, v88
	v_fma_f32 v35, v35, v90, -v91
	v_sub_f32_e32 v82, v50, v47
	v_sub_f32_e32 v44, v45, v50
	;; [unrolled: 1-line block ×4, first 2 shown]
	v_add_f32_e32 v90, v45, v74
	v_add_f32_e32 v91, v4, v18
	;; [unrolled: 1-line block ×5, first 2 shown]
	v_fmamk_f32 v21, v84, 0x3f737871, v41
	v_fmac_f32_e32 v41, 0xbf737871, v84
	v_sub_f32_e32 v136, v52, v53
	v_fmac_f32_e32 v55, v122, v80
	v_fmac_f32_e32 v83, v121, v92
	v_fma_f32 v42, v42, v92, -v93
	v_fma_f32 v37, v37, v86, -v87
	v_add_f32_e32 v78, v140, v141
	v_sub_f32_e32 v54, v49, v4
	v_sub_f32_e32 v56, v114, v66
	v_add_f32_e32 v63, v4, v66
	v_add_f32_e32 v120, v43, v46
	;; [unrolled: 1-line block ×3, first 2 shown]
	s_waitcnt lgkmcnt(2)
	v_add_f32_e32 v140, v7, v62
	v_add_f32_e32 v141, v59, v5
	;; [unrolled: 1-line block ×5, first 2 shown]
	v_fmac_f32_e32 v21, 0x3f167918, v82
	v_fmac_f32_e32 v41, 0xbf167918, v82
	s_waitcnt vmcnt(5)
	v_mul_f32_e32 v123, v31, v15
	v_fmac_f32_e32 v116, v131, v86
	v_add_f32_e32 v77, v125, v136
	v_add_f32_e32 v51, v50, v47
	v_sub_f32_e32 v92, v7, v55
	v_add_f32_e32 v113, v55, v57
	v_sub_f32_e32 v122, v55, v57
	v_sub_f32_e32 v125, v55, v7
	v_add_f32_e32 v129, v7, v75
	v_sub_f32_e32 v142, v81, v83
	v_add_f32_e32 v151, v42, v37
	v_sub_f32_e32 v152, v81, v85
	v_sub_f32_e32 v154, v83, v81
	v_add_f32_e32 v156, v81, v85
	v_add_f32_e32 v159, v35, v69
	s_waitcnt lgkmcnt(1)
	v_add_f32_e32 v81, v81, v61
	v_add_f32_e32 v162, v54, v56
	v_fma_f32 v39, -0.5, v63, v18
	v_fma_f32 v48, -0.5, v120, v59
	;; [unrolled: 1-line block ×3, first 2 shown]
	v_add_f32_e32 v54, v55, v140
	v_add_f32_e32 v55, v141, v43
	v_add_f32_e32 v18, v24, v20
	v_add_f32_e32 v24, v114, v44
	v_add_f32_e32 v59, v45, v47
	v_fmac_f32_e32 v21, 0x3e9e377a, v28
	v_fmac_f32_e32 v41, 0x3e9e377a, v28
	s_waitcnt vmcnt(4)
	v_mul_f32_e32 v28, v36, v9
	v_mul_f32_e32 v15, v133, v15
	;; [unrolled: 1-line block ×4, first 2 shown]
	v_fmac_f32_e32 v123, v133, v14
	v_add_f32_e32 v80, v148, v149
	v_sub_f32_e32 v86, v4, v66
	v_sub_f32_e32 v87, v49, v114
	;; [unrolled: 1-line block ×10, first 2 shown]
	v_add_f32_e32 v148, v83, v116
	v_sub_f32_e32 v149, v35, v42
	v_sub_f32_e32 v153, v83, v116
	;; [unrolled: 1-line block ×3, first 2 shown]
	v_add_f32_e32 v35, v58, v35
	v_fmamk_f32 v5, v138, 0x3f737871, v1
	v_fmac_f32_e32 v1, 0xbf737871, v138
	v_fma_f32 v40, -0.5, v51, v38
	v_fma_f32 v49, -0.5, v113, v62
	;; [unrolled: 1-line block ×5, first 2 shown]
	v_add_f32_e32 v58, v83, v81
	v_add_f32_e32 v83, v55, v46
	;; [unrolled: 1-line block ×4, first 2 shown]
	v_mul_f32_e32 v24, v33, v11
	v_mul_f32_e32 v13, v68, v13
	;; [unrolled: 1-line block ×3, first 2 shown]
	v_fmac_f32_e32 v28, v130, v8
	v_fma_f32 v66, v31, v14, -v15
	v_fma_f32 v74, v36, v8, -v9
	v_sub_f32_e32 v146, v53, v52
	v_fmac_f32_e32 v117, v68, v12
	v_fmamk_f32 v4, v143, 0xbf737871, v0
	v_fmac_f32_e32 v0, 0x3f737871, v143
	v_add_f32_e32 v35, v35, v42
	v_fmac_f32_e32 v5, 0x3f167918, v137
	v_fmac_f32_e32 v1, 0xbf167918, v137
	v_add_f32_e32 v81, v57, v54
	v_fma_f32 v31, v34, v12, -v13
	v_fma_f32 v33, v33, v10, -v11
	v_add_f32_e32 v8, v123, v28
	v_fmac_f32_e32 v24, v135, v10
	v_add_f32_e32 v9, v66, v74
	v_add_f32_e32 v79, v145, v146
	v_sub_f32_e32 v93, v75, v57
	v_sub_f32_e32 v121, v7, v75
	;; [unrolled: 1-line block ×6, first 2 shown]
	v_fmamk_f32 v7, v137, 0x3f737871, v3
	v_fmac_f32_e32 v3, 0xbf737871, v137
	v_fmac_f32_e32 v4, 0xbf167918, v144
	v_fmac_f32_e32 v0, 0x3f167918, v144
	v_add_f32_e32 v37, v35, v37
	v_fmac_f32_e32 v5, 0x3e9e377a, v77
	v_fmac_f32_e32 v1, 0x3e9e377a, v77
	v_add_f32_e32 v59, v75, v81
	v_sub_f32_e32 v75, v31, v33
	s_waitcnt lgkmcnt(0)
	v_fma_f32 v11, -0.5, v8, v160
	v_fma_f32 v10, -0.5, v9, v72
	v_sub_f32_e32 v77, v117, v24
	v_fmamk_f32 v6, v144, 0xbf737871, v2
	v_fmac_f32_e32 v2, 0x3f737871, v144
	v_fmac_f32_e32 v7, 0xbf167918, v138
	;; [unrolled: 1-line block ×5, first 2 shown]
	v_sub_f32_e32 v12, v117, v123
	v_sub_f32_e32 v13, v24, v28
	;; [unrolled: 1-line block ×3, first 2 shown]
	v_fmamk_f32 v9, v75, 0x3f737871, v11
	v_sub_f32_e32 v15, v31, v66
	v_sub_f32_e32 v36, v33, v74
	v_fmamk_f32 v8, v77, 0xbf737871, v10
	v_sub_f32_e32 v78, v123, v28
	v_add_f32_e32 v34, v69, v37
	v_fmac_f32_e32 v11, 0xbf737871, v75
	v_fmac_f32_e32 v10, 0x3f737871, v77
	v_sub_f32_e32 v37, v123, v117
	v_sub_f32_e32 v68, v28, v24
	v_fmac_f32_e32 v6, 0x3f167918, v143
	v_fmac_f32_e32 v2, 0xbf167918, v143
	;; [unrolled: 1-line block ×4, first 2 shown]
	v_add_f32_e32 v12, v12, v13
	v_fmac_f32_e32 v9, 0x3f167918, v14
	v_add_f32_e32 v36, v15, v36
	v_fmac_f32_e32 v8, 0xbf167918, v78
	v_fmac_f32_e32 v11, 0xbf167918, v14
	;; [unrolled: 1-line block ×3, first 2 shown]
	v_add_f32_e32 v79, v37, v68
	v_add_f32_e32 v68, v117, v160
	v_fmac_f32_e32 v6, 0x3e9e377a, v80
	v_fmac_f32_e32 v2, 0x3e9e377a, v80
	v_add_f32_e32 v13, v117, v24
	v_fmac_f32_e32 v9, 0x3e9e377a, v12
	v_fmac_f32_e32 v8, 0x3e9e377a, v36
	;; [unrolled: 1-line block ×3, first 2 shown]
	v_add_f32_e32 v12, v31, v33
	v_fmac_f32_e32 v10, 0x3e9e377a, v36
	ds_read2_b32 v[36:37], v126 offset0:119 offset1:136
	v_add_f32_e32 v80, v123, v68
	ds_read2_b32 v[68:69], v73 offset0:101 offset1:118
	v_fma_f32 v13, -0.5, v13, v160
	v_fma_f32 v12, -0.5, v12, v72
	v_add_f32_e32 v114, v116, v58
	v_add_f32_e32 v58, v76, v83
	ds_read_b32 v76, v127
	ds_read_b32 v83, v106
	v_fmamk_f32 v15, v14, 0xbf737871, v13
	v_fmac_f32_e32 v13, 0x3f737871, v14
	v_fmamk_f32 v14, v78, 0x3f737871, v12
	v_fmac_f32_e32 v12, 0xbf737871, v78
	v_add_f32_e32 v28, v28, v80
	v_fmac_f32_e32 v15, 0x3f167918, v75
	v_fmac_f32_e32 v13, 0xbf167918, v75
	;; [unrolled: 1-line block ×3, first 2 shown]
	s_waitcnt vmcnt(0)
	v_mul_f32_e32 v75, v23, v108
	v_mul_f32_e32 v78, v30, v110
	v_fmac_f32_e32 v12, 0x3f167918, v77
	v_mul_f32_e32 v77, v27, v103
	v_fmamk_f32 v43, v82, 0xbf737871, v39
	v_fmac_f32_e32 v39, 0x3f737871, v82
	v_sub_f32_e32 v81, v66, v31
	v_sub_f32_e32 v82, v74, v33
	v_fmac_f32_e32 v15, 0x3e9e377a, v79
	v_fmac_f32_e32 v13, 0x3e9e377a, v79
	v_add_f32_e32 v24, v24, v28
	v_add_f32_e32 v28, v72, v31
	s_waitcnt lgkmcnt(3)
	v_fmac_f32_e32 v75, v37, v107
	v_fmac_f32_e32 v78, v132, v109
	v_mul_f32_e32 v79, v32, v105
	v_mul_f32_e32 v31, v37, v108
	;; [unrolled: 1-line block ×3, first 2 shown]
	s_waitcnt lgkmcnt(2)
	v_fmac_f32_e32 v77, v69, v102
	v_mul_f32_e32 v72, v132, v110
	v_mul_f32_e32 v69, v69, v103
	v_fma_f32 v38, -0.5, v90, v38
	v_add_f32_e32 v73, v81, v82
	v_fma_f32 v80, v23, v107, -v31
	v_fma_f32 v81, v32, v104, -v37
	v_fmac_f32_e32 v79, v134, v104
	v_add_f32_e32 v23, v78, v77
	v_fma_f32 v37, v30, v109, -v72
	v_fma_f32 v69, v27, v102, -v69
	v_fmamk_f32 v42, v87, 0x3f737871, v38
	v_fmac_f32_e32 v38, 0xbf737871, v87
	s_waitcnt lgkmcnt(1)
	v_fma_f32 v31, -0.5, v23, v76
	v_add_f32_e32 v23, v28, v66
	v_sub_f32_e32 v27, v75, v78
	v_sub_f32_e32 v30, v79, v77
	v_add_f32_e32 v32, v37, v69
	v_add_f32_e32 v88, v88, v89
	v_fmamk_f32 v20, v86, 0xbf737871, v40
	v_fmac_f32_e32 v40, 0x3f737871, v86
	v_fmac_f32_e32 v42, 0xbf167918, v86
	;; [unrolled: 1-line block ×3, first 2 shown]
	v_add_f32_e32 v23, v23, v74
	v_add_f32_e32 v74, v27, v30
	v_fma_f32 v30, -0.5, v32, v71
	v_add_f32_e32 v32, v75, v79
	v_fmac_f32_e32 v20, 0xbf167918, v87
	v_fmac_f32_e32 v40, 0x3f167918, v87
	;; [unrolled: 1-line block ×4, first 2 shown]
	v_sub_f32_e32 v82, v80, v81
	v_add_f32_e32 v23, v33, v23
	v_fma_f32 v33, -0.5, v32, v76
	v_sub_f32_e32 v32, v78, v75
	v_sub_f32_e32 v87, v77, v79
	v_add_f32_e32 v88, v80, v81
	v_sub_f32_e32 v145, v85, v116
	v_sub_f32_e32 v155, v116, v85
	v_add_f32_e32 v35, v85, v114
	v_sub_f32_e32 v66, v37, v69
	v_fmamk_f32 v28, v82, 0x3f737871, v31
	v_sub_f32_e32 v72, v80, v37
	v_sub_f32_e32 v85, v81, v69
	;; [unrolled: 1-line block ×3, first 2 shown]
	v_add_f32_e32 v87, v32, v87
	v_fma_f32 v32, -0.5, v88, v71
	v_fmac_f32_e32 v31, 0xbf737871, v82
	v_fmamk_f32 v45, v112, 0x3f737871, v49
	v_fmac_f32_e32 v49, 0xbf737871, v112
	v_fmac_f32_e32 v43, 0x3f167918, v84
	;; [unrolled: 1-line block ×6, first 2 shown]
	v_sub_f32_e32 v84, v75, v79
	v_fmamk_f32 v73, v66, 0xbf737871, v33
	v_add_f32_e32 v85, v72, v85
	v_fmamk_f32 v72, v86, 0x3f737871, v32
	v_fmac_f32_e32 v33, 0x3f737871, v66
	v_fmac_f32_e32 v32, 0xbf737871, v86
	;; [unrolled: 1-line block ×3, first 2 shown]
	v_add_f32_e32 v66, v75, v76
	v_add_f32_e32 v89, v92, v93
	v_fmac_f32_e32 v45, 0x3f167918, v111
	v_fmac_f32_e32 v49, 0xbf167918, v111
	v_fmamk_f32 v27, v84, 0xbf737871, v30
	v_fmac_f32_e32 v73, 0x3f167918, v82
	v_fmac_f32_e32 v72, 0xbf167918, v84
	;; [unrolled: 1-line block ×5, first 2 shown]
	v_mul_f32_e32 v82, v22, v99
	v_mul_f32_e32 v84, v25, v101
	v_add_f32_e32 v66, v78, v66
	v_mul_f32_e32 v78, v26, v95
	v_fmac_f32_e32 v45, 0x3e9e377a, v89
	v_fmac_f32_e32 v49, 0x3e9e377a, v89
	v_sub_f32_e32 v88, v37, v80
	v_sub_f32_e32 v89, v69, v81
	v_fmac_f32_e32 v27, 0xbf167918, v86
	v_fmac_f32_e32 v30, 0x3f167918, v86
	v_add_f32_e32 v71, v71, v80
	v_fmac_f32_e32 v82, v36, v98
	v_fmac_f32_e32 v84, v67, v100
	v_mul_f32_e32 v80, v29, v97
	v_mul_f32_e32 v36, v36, v99
	v_fmac_f32_e32 v78, v68, v94
	v_mul_f32_e32 v67, v67, v101
	v_mul_f32_e32 v68, v68, v95
	v_add_f32_e32 v88, v88, v89
	v_mul_hi_u32 v89, 0x44d72045, v124
	v_fmac_f32_e32 v28, 0x3e9e377a, v74
	v_fmac_f32_e32 v27, 0x3e9e377a, v85
	;; [unrolled: 1-line block ×4, first 2 shown]
	v_mul_f32_e32 v74, v118, v97
	v_fma_f32 v22, v22, v98, -v36
	v_add_f32_e32 v36, v84, v78
	v_fmac_f32_e32 v80, v118, v96
	v_fma_f32 v85, v25, v100, -v67
	v_fma_f32 v86, v26, v94, -v68
	v_add_f32_e32 v25, v71, v37
	v_fmamk_f32 v44, v121, 0xbf737871, v48
	v_fmac_f32_e32 v48, 0x3f737871, v121
	v_fma_f32 v29, v29, v96, -v74
	s_waitcnt lgkmcnt(0)
	v_fma_f32 v26, -0.5, v36, v83
	v_sub_f32_e32 v36, v82, v84
	v_sub_f32_e32 v67, v80, v78
	v_add_f32_e32 v66, v77, v66
	v_add_f32_e32 v25, v25, v69
	;; [unrolled: 1-line block ×3, first 2 shown]
	v_lshrrev_b32_e32 v89, 5, v89
	v_add_f32_e32 v69, v82, v80
	v_add_f32_e32 v90, v115, v119
	v_fmac_f32_e32 v44, 0xbf167918, v122
	v_fmac_f32_e32 v48, 0x3f167918, v122
	;; [unrolled: 1-line block ×6, first 2 shown]
	v_add_f32_e32 v87, v36, v67
	v_add_f32_e32 v67, v79, v66
	;; [unrolled: 1-line block ×3, first 2 shown]
	v_fma_f32 v25, -0.5, v68, v70
	v_sub_f32_e32 v68, v22, v85
	v_sub_f32_e32 v74, v29, v86
	v_add_f32_e32 v88, v22, v29
	v_mul_lo_u32 v89, 0x77, v89
	v_sub_f32_e32 v71, v85, v86
	v_sub_f32_e32 v75, v84, v82
	v_sub_f32_e32 v81, v78, v80
	v_fma_f32 v69, -0.5, v69, v83
	v_fmac_f32_e32 v44, 0x3e9e377a, v90
	v_fmac_f32_e32 v48, 0x3e9e377a, v90
	v_sub_f32_e32 v79, v84, v78
	v_add_f32_e32 v90, v68, v74
	v_fma_f32 v68, -0.5, v88, v70
	v_sub_f32_e32 v76, v22, v29
	v_add_f32_e32 v81, v75, v81
	v_fmamk_f32 v75, v71, 0xbf737871, v69
	v_fmac_f32_e32 v69, 0x3f737871, v71
	v_sub_f32_e32 v77, v82, v80
	v_fmamk_f32 v74, v79, 0x3f737871, v68
	v_fmac_f32_e32 v68, 0xbf737871, v79
	v_sub_nc_u32_e32 v89, v124, v89
	v_fmac_f32_e32 v75, 0x3f167918, v76
	v_fmac_f32_e32 v69, 0xbf167918, v76
	v_fmamk_f32 v37, v76, 0x3f737871, v26
	v_fmamk_f32 v36, v77, 0xbf737871, v25
	v_fmac_f32_e32 v74, 0xbf167918, v77
	v_fmac_f32_e32 v68, 0x3f167918, v77
	v_fmac_f32_e32 v26, 0xbf737871, v76
	v_fmac_f32_e32 v25, 0x3f737871, v77
	v_mad_u64_u32 v[76:77], null, s2, v89, 0
	v_fmac_f32_e32 v75, 0x3e9e377a, v81
	v_fmac_f32_e32 v69, 0x3e9e377a, v81
	v_add_f32_e32 v81, v82, v83
	v_add_f32_e32 v70, v70, v22
	v_fmac_f32_e32 v37, 0x3f167918, v71
	v_sub_f32_e32 v88, v85, v22
	v_fmac_f32_e32 v26, 0xbf167918, v71
	v_add_f32_e32 v71, v84, v81
	v_mov_b32_e32 v22, v77
	v_add_f32_e32 v19, v53, v19
	v_fmamk_f32 v53, v111, 0xbf737871, v51
	v_fmac_f32_e32 v51, 0x3f737871, v111
	v_add_f32_e32 v77, v70, v85
	v_add_f32_e32 v78, v78, v71
	v_mad_u64_u32 v[70:71], null, s3, v89, v[22:23]
	v_add_f32_e32 v91, v125, v128
	v_fmac_f32_e32 v53, 0x3f167918, v112
	v_fmac_f32_e32 v51, 0xbf167918, v112
	v_add_nc_u32_e32 v71, 0x77, v89
	v_add_f32_e32 v22, v77, v86
	v_fmac_f32_e32 v36, 0xbf167918, v79
	v_fmac_f32_e32 v53, 0x3e9e377a, v91
	;; [unrolled: 1-line block ×3, first 2 shown]
	v_sub_f32_e32 v91, v86, v29
	v_fmac_f32_e32 v25, 0x3f167918, v79
	v_add_f32_e32 v79, v80, v78
	v_mad_u64_u32 v[80:81], null, s2, v71, 0
	v_add_f32_e32 v78, v29, v22
	v_add_nc_u32_e32 v29, 0xee, v89
	v_add_co_u32 v82, vcc_lo, s10, v64
	v_add_co_ci_u32_e32 v83, vcc_lo, s11, v65, vcc_lo
	v_mad_u64_u32 v[64:65], null, s2, v29, 0
	v_mov_b32_e32 v22, v81
	v_add_nc_u32_e32 v84, 17, v124
	v_mov_b32_e32 v77, v70
	v_add_nc_u32_e32 v85, 0x165, v89
	v_add_co_u32 v16, vcc_lo, v82, v16
	v_mad_u64_u32 v[70:71], null, s3, v71, v[22:23]
	v_mov_b32_e32 v22, v65
	v_mul_hi_u32 v65, 0x44d72045, v84
	v_add_co_ci_u32_e32 v17, vcc_lo, v83, v17, vcc_lo
	v_mad_u64_u32 v[82:83], null, s2, v85, 0
	v_mov_b32_e32 v81, v70
	v_mad_u64_u32 v[70:71], null, s3, v29, v[22:23]
	v_lshrrev_b32_e32 v86, 5, v65
	v_fmac_f32_e32 v37, 0x3e9e377a, v87
	v_fmac_f32_e32 v26, 0x3e9e377a, v87
	v_add_nc_u32_e32 v87, 0x1dc, v89
	v_mov_b32_e32 v22, v83
	v_mul_lo_u32 v29, 0x77, v86
	v_mov_b32_e32 v65, v70
	v_lshlrev_b64 v[76:77], 3, v[76:77]
	v_mad_u64_u32 v[70:71], null, s2, v87, 0
	v_lshlrev_b64 v[80:81], 3, v[80:81]
	v_lshlrev_b64 v[64:65], 3, v[64:65]
	v_add_f32_e32 v88, v88, v91
	v_sub_nc_u32_e32 v29, v84, v29
	v_mad_u64_u32 v[83:84], null, s3, v85, v[22:23]
	v_mov_b32_e32 v22, v71
	v_add_co_u32 v76, vcc_lo, v16, v76
	v_mad_u64_u32 v[84:85], null, 0x253, v86, v[29:30]
	v_add_co_ci_u32_e32 v77, vcc_lo, v17, v77, vcc_lo
	v_mad_u64_u32 v[85:86], null, s3, v87, v[22:23]
	v_add_co_u32 v80, vcc_lo, v16, v80
	v_mad_u64_u32 v[86:87], null, s2, v84, 0
	v_add_co_ci_u32_e32 v81, vcc_lo, v17, v81, vcc_lo
	v_add_co_u32 v64, vcc_lo, v16, v64
	v_add_nc_u32_e32 v29, 0x77, v84
	v_fmac_f32_e32 v25, 0x3e9e377a, v90
	v_fmac_f32_e32 v68, 0x3e9e377a, v88
	v_add_co_ci_u32_e32 v65, vcc_lo, v17, v65, vcc_lo
	global_store_dwordx2 v[76:77], v[78:79], off
	global_store_dwordx2 v[80:81], v[25:26], off
	;; [unrolled: 1-line block ×3, first 2 shown]
	v_mov_b32_e32 v71, v85
	v_mov_b32_e32 v22, v87
	v_mad_u64_u32 v[64:65], null, s2, v29, 0
	v_lshlrev_b64 v[25:26], 3, v[82:83]
	v_lshlrev_b64 v[68:69], 3, v[70:71]
	v_mad_u64_u32 v[70:71], null, s3, v84, v[22:23]
	v_add_nc_u32_e32 v76, 34, v124
	v_fmac_f32_e32 v74, 0x3e9e377a, v88
	v_mov_b32_e32 v22, v65
	v_add_co_u32 v25, vcc_lo, v16, v25
	v_add_co_ci_u32_e32 v26, vcc_lo, v17, v26, vcc_lo
	v_add_co_u32 v68, vcc_lo, v16, v68
	v_mov_b32_e32 v87, v70
	v_mad_u64_u32 v[70:71], null, s3, v29, v[22:23]
	v_mul_hi_u32 v22, 0x44d72045, v76
	v_add_nc_u32_e32 v29, 0xee, v84
	v_fmac_f32_e32 v36, 0x3e9e377a, v90
	v_add_co_ci_u32_e32 v69, vcc_lo, v17, v69, vcc_lo
	global_store_dwordx2 v[25:26], v[74:75], off
	global_store_dwordx2 v[68:69], v[36:37], off
	v_mad_u64_u32 v[36:37], null, s2, v29, 0
	v_lshrrev_b32_e32 v71, 5, v22
	v_add_nc_u32_e32 v78, 0x165, v84
	v_add_nc_u32_e32 v79, 0x1dc, v84
	v_mov_b32_e32 v65, v70
	v_lshlrev_b64 v[25:26], 3, v[86:87]
	v_fma_f32 v63, -0.5, v148, v61
	v_mov_b32_e32 v22, v37
	v_mul_lo_u32 v37, 0x77, v71
	v_mad_u64_u32 v[74:75], null, s2, v79, 0
	v_lshlrev_b64 v[64:65], 3, v[64:65]
	v_mad_u64_u32 v[68:69], null, s3, v29, v[22:23]
	v_mad_u64_u32 v[69:70], null, s2, v78, 0
	v_sub_nc_u32_e32 v22, v76, v37
	v_add_co_u32 v25, vcc_lo, v16, v25
	v_add_co_ci_u32_e32 v26, vcc_lo, v17, v26, vcc_lo
	v_mad_u64_u32 v[76:77], null, 0x253, v71, v[22:23]
	v_mov_b32_e32 v29, v70
	v_mov_b32_e32 v22, v75
	;; [unrolled: 1-line block ×3, first 2 shown]
	v_add_co_u32 v64, vcc_lo, v16, v64
	v_mad_u64_u32 v[70:71], null, s3, v78, v[29:30]
	v_mad_u64_u32 v[77:78], null, s3, v79, v[22:23]
	;; [unrolled: 1-line block ×3, first 2 shown]
	v_lshlrev_b64 v[36:37], 3, v[36:37]
	v_add_co_ci_u32_e32 v65, vcc_lo, v17, v65, vcc_lo
	global_store_dwordx2 v[25:26], v[66:67], off
	v_add_nc_u32_e32 v66, 0x77, v76
	v_add_nc_u32_e32 v68, 0xee, v76
	v_add_co_u32 v36, vcc_lo, v16, v36
	v_mov_b32_e32 v22, v79
	v_add_co_ci_u32_e32 v37, vcc_lo, v17, v37, vcc_lo
	global_store_dwordx2 v[64:65], v[30:31], off
	global_store_dwordx2 v[36:37], v[32:33], off
	v_mad_u64_u32 v[31:32], null, s3, v76, v[22:23]
	v_mad_u64_u32 v[32:33], null, s2, v66, 0
	;; [unrolled: 1-line block ×3, first 2 shown]
	v_mov_b32_e32 v75, v77
	v_lshlrev_b64 v[25:26], 3, v[69:70]
	v_mov_b32_e32 v79, v31
	v_add_nc_u32_e32 v70, 51, v124
	v_mov_b32_e32 v22, v33
	v_lshlrev_b64 v[29:30], 3, v[74:75]
	v_mov_b32_e32 v31, v37
	v_add_co_u32 v25, vcc_lo, v16, v25
	v_mad_u64_u32 v[66:67], null, s3, v66, v[22:23]
	v_mad_u64_u32 v[67:68], null, s3, v68, v[31:32]
	v_lshlrev_b64 v[64:65], 3, v[78:79]
	v_add_nc_u32_e32 v31, 0x165, v76
	v_add_co_ci_u32_e32 v26, vcc_lo, v17, v26, vcc_lo
	v_add_co_u32 v29, vcc_lo, v16, v29
	v_add_co_ci_u32_e32 v30, vcc_lo, v17, v30, vcc_lo
	v_mad_u64_u32 v[68:69], null, s2, v31, 0
	v_add_co_u32 v64, vcc_lo, v16, v64
	v_mov_b32_e32 v37, v67
	v_add_co_ci_u32_e32 v65, vcc_lo, v17, v65, vcc_lo
	v_mul_hi_u32 v71, 0x44d72045, v70
	v_mov_b32_e32 v33, v66
	global_store_dwordx2 v[25:26], v[72:73], off
	global_store_dwordx2 v[29:30], v[27:28], off
	v_lshlrev_b64 v[25:26], 3, v[36:37]
	global_store_dwordx2 v[64:65], v[23:24], off
	v_mov_b32_e32 v24, v69
	v_lshlrev_b64 v[22:23], 3, v[32:33]
	v_add_nc_u32_e32 v33, 0x1dc, v76
	v_lshrrev_b32_e32 v32, 5, v71
	v_fmamk_f32 v55, v147, 0x3f737871, v63
	v_mad_u64_u32 v[27:28], null, s3, v31, v[24:25]
	v_mad_u64_u32 v[28:29], null, s2, v33, 0
	v_mul_lo_u32 v24, 0x77, v32
	v_add_co_u32 v22, vcc_lo, v16, v22
	v_add_co_ci_u32_e32 v23, vcc_lo, v17, v23, vcc_lo
	v_mov_b32_e32 v69, v27
	v_add_co_u32 v25, vcc_lo, v16, v25
	v_sub_nc_u32_e32 v24, v70, v24
	v_mov_b32_e32 v27, v29
	v_lshlrev_b64 v[29:30], 3, v[68:69]
	v_add_co_ci_u32_e32 v26, vcc_lo, v17, v26, vcc_lo
	v_mad_u64_u32 v[31:32], null, 0x253, v32, v[24:25]
	v_mad_u64_u32 v[32:33], null, s3, v33, v[27:28]
	v_add_co_u32 v36, vcc_lo, v16, v29
	v_add_co_ci_u32_e32 v37, vcc_lo, v17, v30, vcc_lo
	v_mad_u64_u32 v[64:65], null, s2, v31, 0
	global_store_dwordx2 v[22:23], v[10:11], off
	global_store_dwordx2 v[25:26], v[12:13], off
	;; [unrolled: 1-line block ×3, first 2 shown]
	v_add_nc_u32_e32 v15, 0x77, v31
	v_add_nc_u32_e32 v26, 0x44, v124
	v_mov_b32_e32 v29, v32
	v_add_nc_u32_e32 v27, 0xee, v31
	v_mov_b32_e32 v12, v65
	v_mad_u64_u32 v[13:14], null, s2, v15, 0
	v_mul_hi_u32 v25, 0x44d72045, v26
	v_lshlrev_b64 v[10:11], 3, v[28:29]
	v_fmamk_f32 v54, v152, 0xbf737871, v62
	v_fmac_f32_e32 v63, 0xbf737871, v147
	v_fmac_f32_e32 v62, 0x3f737871, v152
	v_add_nc_u32_e32 v30, 0x1dc, v31
	v_mad_u64_u32 v[22:23], null, s3, v31, v[12:13]
	v_add_co_u32 v10, vcc_lo, v16, v10
	v_mad_u64_u32 v[23:24], null, s2, v27, 0
	v_lshrrev_b32_e32 v28, 5, v25
	v_add_co_ci_u32_e32 v11, vcc_lo, v17, v11, vcc_lo
	v_mov_b32_e32 v12, v14
	v_mov_b32_e32 v65, v22
	v_mul_lo_u32 v22, 0x77, v28
	global_store_dwordx2 v[10:11], v[8:9], off
	v_mov_b32_e32 v10, v24
	v_mad_u64_u32 v[14:15], null, s3, v15, v[12:13]
	v_lshlrev_b64 v[11:12], 3, v[64:65]
	v_add_nc_u32_e32 v15, 0x165, v31
	v_add_f32_e32 v93, v142, v145
	v_add_f32_e32 v113, v149, v150
	v_fmac_f32_e32 v63, 0xbf167918, v146
	v_fmac_f32_e32 v62, 0x3f167918, v153
	v_mad_u64_u32 v[24:25], null, s3, v27, v[10:11]
	v_sub_nc_u32_e32 v10, v26, v22
	v_mad_u64_u32 v[8:9], null, s2, v15, 0
	v_mad_u64_u32 v[25:26], null, s2, v30, 0
	;; [unrolled: 1-line block ×3, first 2 shown]
	v_add_co_u32 v10, vcc_lo, v16, v11
	v_add_co_ci_u32_e32 v11, vcc_lo, v17, v12, vcc_lo
	v_lshlrev_b64 v[12:13], 3, v[13:14]
	v_fmac_f32_e32 v63, 0x3e9e377a, v93
	v_mad_u64_u32 v[28:29], null, s2, v27, 0
	v_fmac_f32_e32 v62, 0x3e9e377a, v113
	v_fma_f32 v61, -0.5, v156, v61
	v_add_co_u32 v12, vcc_lo, v16, v12
	v_add_co_ci_u32_e32 v13, vcc_lo, v17, v13, vcc_lo
	v_mad_u64_u32 v[14:15], null, s3, v15, v[9:10]
	global_store_dwordx2 v[10:11], v[34:35], off
	v_lshlrev_b64 v[10:11], 3, v[23:24]
	v_mov_b32_e32 v9, v26
	global_store_dwordx2 v[12:13], v[62:63], off
	v_mov_b32_e32 v12, v29
	v_fmamk_f32 v57, v146, 0xbf737871, v61
	v_fmamk_f32 v56, v153, 0x3f737871, v60
	v_fmac_f32_e32 v61, 0x3f737871, v146
	v_fmac_f32_e32 v60, 0xbf737871, v153
	v_mad_u64_u32 v[22:23], null, s3, v30, v[9:10]
	v_mad_u64_u32 v[12:13], null, s3, v27, v[12:13]
	v_add_f32_e32 v115, v154, v155
	v_add_f32_e32 v119, v157, v158
	v_fmac_f32_e32 v61, 0xbf167918, v147
	v_fmac_f32_e32 v60, 0x3f167918, v152
	v_mov_b32_e32 v9, v14
	v_add_co_u32 v10, vcc_lo, v16, v10
	v_add_nc_u32_e32 v24, 0x77, v27
	v_fmac_f32_e32 v61, 0x3e9e377a, v115
	v_fmac_f32_e32 v60, 0x3e9e377a, v119
	v_add_co_ci_u32_e32 v11, vcc_lo, v17, v11, vcc_lo
	v_mov_b32_e32 v26, v22
	v_mov_b32_e32 v29, v12
	v_add_nc_u32_e32 v30, 0xee, v27
	v_add_nc_u32_e32 v31, 0x55, v124
	v_lshlrev_b64 v[8:9], 3, v[8:9]
	v_mad_u64_u32 v[12:13], null, s2, v24, 0
	global_store_dwordx2 v[10:11], v[60:61], off
	v_lshlrev_b64 v[10:11], 3, v[25:26]
	v_lshlrev_b64 v[14:15], 3, v[28:29]
	v_mad_u64_u32 v[22:23], null, s2, v30, 0
	v_mul_hi_u32 v26, 0x44d72045, v31
	v_add_co_u32 v8, vcc_lo, v16, v8
	v_add_co_ci_u32_e32 v9, vcc_lo, v17, v9, vcc_lo
	v_add_co_u32 v10, vcc_lo, v16, v10
	v_mad_u64_u32 v[24:25], null, s3, v24, v[13:14]
	v_add_co_ci_u32_e32 v11, vcc_lo, v17, v11, vcc_lo
	v_add_nc_u32_e32 v32, 0x165, v27
	v_add_co_u32 v14, vcc_lo, v16, v14
	v_mov_b32_e32 v13, v23
	v_lshrrev_b32_e32 v33, 5, v26
	v_fmac_f32_e32 v57, 0x3f167918, v147
	v_fmac_f32_e32 v56, 0xbf167918, v152
	;; [unrolled: 1-line block ×4, first 2 shown]
	v_mad_u64_u32 v[25:26], null, s2, v32, 0
	v_mad_u64_u32 v[28:29], null, s3, v30, v[13:14]
	v_mov_b32_e32 v13, v24
	v_mul_lo_u32 v24, 0x77, v33
	v_fmac_f32_e32 v57, 0x3e9e377a, v115
	v_fmac_f32_e32 v56, 0x3e9e377a, v119
	;; [unrolled: 1-line block ×4, first 2 shown]
	v_add_co_ci_u32_e32 v15, vcc_lo, v17, v15, vcc_lo
	global_store_dwordx2 v[8:9], v[56:57], off
	global_store_dwordx2 v[10:11], v[54:55], off
	global_store_dwordx2 v[14:15], v[58:59], off
	v_mov_b32_e32 v10, v26
	v_sub_nc_u32_e32 v11, v31, v24
	v_lshlrev_b64 v[8:9], 3, v[12:13]
	v_add_nc_u32_e32 v15, 0x1dc, v27
	v_mov_b32_e32 v23, v28
	v_add_f32_e32 v19, v52, v19
	v_mad_u64_u32 v[12:13], null, s3, v32, v[10:11]
	v_mad_u64_u32 v[13:14], null, s2, v15, 0
	v_lshlrev_b64 v[22:23], 3, v[22:23]
	v_fmamk_f32 v52, v122, 0x3f737871, v50
	v_fmac_f32_e32 v50, 0xbf737871, v122
	v_add_co_u32 v8, vcc_lo, v16, v8
	v_mad_u64_u32 v[10:11], null, 0x253, v33, v[11:12]
	v_mov_b32_e32 v11, v14
	v_mov_b32_e32 v26, v12
	v_add_co_ci_u32_e32 v9, vcc_lo, v17, v9, vcc_lo
	v_add_co_u32 v22, vcc_lo, v16, v22
	v_mad_u64_u32 v[27:28], null, s2, v10, 0
	v_mad_u64_u32 v[11:12], null, s3, v15, v[11:12]
	v_lshlrev_b64 v[24:25], 3, v[25:26]
	v_add_nc_u32_e32 v15, 0x77, v10
	v_add_f32_e32 v92, v131, v136
	v_fmac_f32_e32 v50, 0x3f167918, v121
	v_mov_b32_e32 v12, v28
	v_add_co_ci_u32_e32 v23, vcc_lo, v17, v23, vcc_lo
	v_mov_b32_e32 v14, v11
	v_mad_u64_u32 v[29:30], null, s2, v15, 0
	v_mad_u64_u32 v[11:12], null, s3, v10, v[12:13]
	v_lshlrev_b64 v[12:13], 3, v[13:14]
	v_add_co_u32 v24, vcc_lo, v16, v24
	v_add_co_ci_u32_e32 v25, vcc_lo, v17, v25, vcc_lo
	v_fmac_f32_e32 v50, 0x3e9e377a, v92
	v_mov_b32_e32 v28, v11
	v_add_co_u32 v11, vcc_lo, v16, v12
	v_add_co_ci_u32_e32 v12, vcc_lo, v17, v13, vcc_lo
	v_lshlrev_b64 v[13:14], 3, v[27:28]
	v_add_nc_u32_e32 v27, 0x165, v10
	global_store_dwordx2 v[8:9], v[48:49], off
	global_store_dwordx2 v[22:23], v[50:51], off
	v_mov_b32_e32 v8, v30
	v_add_nc_u32_e32 v31, 0x66, v124
	v_fmac_f32_e32 v52, 0xbf167918, v121
	v_mad_u64_u32 v[22:23], null, s2, v27, 0
	v_mad_u64_u32 v[8:9], null, s3, v15, v[8:9]
	v_add_nc_u32_e32 v26, 0xee, v10
	v_fmac_f32_e32 v52, 0x3e9e377a, v92
	v_add_co_u32 v13, vcc_lo, v16, v13
	v_mov_b32_e32 v15, v23
	v_mul_hi_u32 v23, 0x44d72045, v31
	v_mov_b32_e32 v30, v8
	v_mad_u64_u32 v[8:9], null, s2, v26, 0
	global_store_dwordx2 v[24:25], v[52:53], off
	v_add_co_ci_u32_e32 v14, vcc_lo, v17, v14, vcc_lo
	v_lshlrev_b64 v[24:25], 3, v[29:30]
	v_add_nc_u32_e32 v29, 0x1dc, v10
	v_lshrrev_b32_e32 v30, 5, v23
	v_mad_u64_u32 v[9:10], null, s3, v26, v[9:10]
	v_mad_u64_u32 v[26:27], null, s3, v27, v[15:16]
	;; [unrolled: 1-line block ×3, first 2 shown]
	v_mul_lo_u32 v15, 0x77, v30
	global_store_dwordx2 v[11:12], v[44:45], off
	global_store_dwordx2 v[13:14], v[46:47], off
	v_lshlrev_b64 v[8:9], 3, v[8:9]
	v_add_co_u32 v24, vcc_lo, v16, v24
	v_mov_b32_e32 v23, v26
	v_mov_b32_e32 v10, v28
	v_add_co_ci_u32_e32 v25, vcc_lo, v17, v25, vcc_lo
	v_sub_nc_u32_e32 v11, v31, v15
	v_lshlrev_b64 v[12:13], 3, v[22:23]
	v_add_co_u32 v8, vcc_lo, v16, v8
	v_fmac_f32_e32 v39, 0x3e9e377a, v162
	v_mad_u64_u32 v[14:15], null, s3, v29, v[10:11]
	v_mad_u64_u32 v[10:11], null, 0x253, v30, v[11:12]
	v_fmac_f32_e32 v40, 0x3e9e377a, v161
	v_add_co_ci_u32_e32 v9, vcc_lo, v17, v9, vcc_lo
	v_add_co_u32 v11, vcc_lo, v16, v12
	v_mov_b32_e32 v28, v14
	v_fmac_f32_e32 v43, 0x3e9e377a, v162
	global_store_dwordx2 v[24:25], v[40:41], off
	v_add_co_ci_u32_e32 v12, vcc_lo, v17, v13, vcc_lo
	v_mad_u64_u32 v[13:14], null, s2, v10, 0
	global_store_dwordx2 v[8:9], v[38:39], off
	v_add_nc_u32_e32 v24, 0x77, v10
	v_lshlrev_b64 v[8:9], 3, v[27:28]
	v_add_nc_u32_e32 v27, 0xee, v10
	global_store_dwordx2 v[11:12], v[42:43], off
	v_add_nc_u32_e32 v30, 0x1dc, v10
	v_mad_u64_u32 v[11:12], null, s2, v24, 0
	v_mad_u64_u32 v[22:23], null, s2, v27, 0
	v_mad_u64_u32 v[14:15], null, s3, v10, v[14:15]
	v_add_nc_u32_e32 v15, 0x165, v10
	v_add_co_u32 v8, vcc_lo, v16, v8
	v_mad_u64_u32 v[24:25], null, s3, v24, v[12:13]
	v_mov_b32_e32 v12, v23
	v_mad_u64_u32 v[25:26], null, s2, v15, 0
	v_fmac_f32_e32 v20, 0x3e9e377a, v161
	v_add_co_ci_u32_e32 v9, vcc_lo, v17, v9, vcc_lo
	v_mad_u64_u32 v[27:28], null, s3, v27, v[12:13]
	v_mad_u64_u32 v[28:29], null, s2, v30, 0
	global_store_dwordx2 v[8:9], v[20:21], off
	v_lshlrev_b64 v[9:10], 3, v[13:14]
	v_mov_b32_e32 v8, v26
	v_mov_b32_e32 v12, v24
	;; [unrolled: 1-line block ×3, first 2 shown]
	v_mad_u64_u32 v[13:14], null, s3, v15, v[8:9]
	v_mov_b32_e32 v8, v29
	v_add_co_u32 v9, vcc_lo, v16, v9
	v_lshlrev_b64 v[11:12], 3, v[11:12]
	v_lshlrev_b64 v[20:21], 3, v[22:23]
	v_add_co_ci_u32_e32 v10, vcc_lo, v17, v10, vcc_lo
	v_mad_u64_u32 v[14:15], null, s3, v30, v[8:9]
	v_mov_b32_e32 v26, v13
	v_add_co_u32 v11, vcc_lo, v16, v11
	v_add_co_ci_u32_e32 v12, vcc_lo, v17, v12, vcc_lo
	v_lshlrev_b64 v[22:23], 3, v[25:26]
	v_mov_b32_e32 v29, v14
	v_add_co_u32 v13, vcc_lo, v16, v20
	v_add_co_ci_u32_e32 v14, vcc_lo, v17, v21, vcc_lo
	v_lshlrev_b64 v[20:21], 3, v[28:29]
	v_add_co_u32 v22, vcc_lo, v16, v22
	v_add_co_ci_u32_e32 v23, vcc_lo, v17, v23, vcc_lo
	v_add_co_u32 v15, vcc_lo, v16, v20
	v_add_co_ci_u32_e32 v16, vcc_lo, v17, v21, vcc_lo
	global_store_dwordx2 v[9:10], v[18:19], off
	global_store_dwordx2 v[11:12], v[0:1], off
	;; [unrolled: 1-line block ×5, first 2 shown]
.LBB0_22:
	s_endpgm
	.section	.rodata,"a",@progbits
	.p2align	6, 0x0
	.amdhsa_kernel fft_rtc_fwd_len595_factors_7_17_5_wgs_51_tpt_17_halfLds_sp_op_CI_CI_sbrr_dirReg
		.amdhsa_group_segment_fixed_size 0
		.amdhsa_private_segment_fixed_size 0
		.amdhsa_kernarg_size 104
		.amdhsa_user_sgpr_count 6
		.amdhsa_user_sgpr_private_segment_buffer 1
		.amdhsa_user_sgpr_dispatch_ptr 0
		.amdhsa_user_sgpr_queue_ptr 0
		.amdhsa_user_sgpr_kernarg_segment_ptr 1
		.amdhsa_user_sgpr_dispatch_id 0
		.amdhsa_user_sgpr_flat_scratch_init 0
		.amdhsa_user_sgpr_private_segment_size 0
		.amdhsa_wavefront_size32 1
		.amdhsa_uses_dynamic_stack 0
		.amdhsa_system_sgpr_private_segment_wavefront_offset 0
		.amdhsa_system_sgpr_workgroup_id_x 1
		.amdhsa_system_sgpr_workgroup_id_y 0
		.amdhsa_system_sgpr_workgroup_id_z 0
		.amdhsa_system_sgpr_workgroup_info 0
		.amdhsa_system_vgpr_workitem_id 0
		.amdhsa_next_free_vgpr 221
		.amdhsa_next_free_sgpr 31
		.amdhsa_reserve_vcc 1
		.amdhsa_reserve_flat_scratch 0
		.amdhsa_float_round_mode_32 0
		.amdhsa_float_round_mode_16_64 0
		.amdhsa_float_denorm_mode_32 3
		.amdhsa_float_denorm_mode_16_64 3
		.amdhsa_dx10_clamp 1
		.amdhsa_ieee_mode 1
		.amdhsa_fp16_overflow 0
		.amdhsa_workgroup_processor_mode 1
		.amdhsa_memory_ordered 1
		.amdhsa_forward_progress 0
		.amdhsa_shared_vgpr_count 0
		.amdhsa_exception_fp_ieee_invalid_op 0
		.amdhsa_exception_fp_denorm_src 0
		.amdhsa_exception_fp_ieee_div_zero 0
		.amdhsa_exception_fp_ieee_overflow 0
		.amdhsa_exception_fp_ieee_underflow 0
		.amdhsa_exception_fp_ieee_inexact 0
		.amdhsa_exception_int_div_zero 0
	.end_amdhsa_kernel
	.text
.Lfunc_end0:
	.size	fft_rtc_fwd_len595_factors_7_17_5_wgs_51_tpt_17_halfLds_sp_op_CI_CI_sbrr_dirReg, .Lfunc_end0-fft_rtc_fwd_len595_factors_7_17_5_wgs_51_tpt_17_halfLds_sp_op_CI_CI_sbrr_dirReg
                                        ; -- End function
	.section	.AMDGPU.csdata,"",@progbits
; Kernel info:
; codeLenInByte = 29912
; NumSgprs: 33
; NumVgprs: 221
; ScratchSize: 0
; MemoryBound: 0
; FloatMode: 240
; IeeeMode: 1
; LDSByteSize: 0 bytes/workgroup (compile time only)
; SGPRBlocks: 4
; VGPRBlocks: 27
; NumSGPRsForWavesPerEU: 33
; NumVGPRsForWavesPerEU: 221
; Occupancy: 4
; WaveLimiterHint : 1
; COMPUTE_PGM_RSRC2:SCRATCH_EN: 0
; COMPUTE_PGM_RSRC2:USER_SGPR: 6
; COMPUTE_PGM_RSRC2:TRAP_HANDLER: 0
; COMPUTE_PGM_RSRC2:TGID_X_EN: 1
; COMPUTE_PGM_RSRC2:TGID_Y_EN: 0
; COMPUTE_PGM_RSRC2:TGID_Z_EN: 0
; COMPUTE_PGM_RSRC2:TIDIG_COMP_CNT: 0
	.text
	.p2alignl 6, 3214868480
	.fill 48, 4, 3214868480
	.type	__hip_cuid_1da81f8f9546a587,@object ; @__hip_cuid_1da81f8f9546a587
	.section	.bss,"aw",@nobits
	.globl	__hip_cuid_1da81f8f9546a587
__hip_cuid_1da81f8f9546a587:
	.byte	0                               ; 0x0
	.size	__hip_cuid_1da81f8f9546a587, 1

	.ident	"AMD clang version 19.0.0git (https://github.com/RadeonOpenCompute/llvm-project roc-6.4.0 25133 c7fe45cf4b819c5991fe208aaa96edf142730f1d)"
	.section	".note.GNU-stack","",@progbits
	.addrsig
	.addrsig_sym __hip_cuid_1da81f8f9546a587
	.amdgpu_metadata
---
amdhsa.kernels:
  - .args:
      - .actual_access:  read_only
        .address_space:  global
        .offset:         0
        .size:           8
        .value_kind:     global_buffer
      - .offset:         8
        .size:           8
        .value_kind:     by_value
      - .actual_access:  read_only
        .address_space:  global
        .offset:         16
        .size:           8
        .value_kind:     global_buffer
      - .actual_access:  read_only
        .address_space:  global
        .offset:         24
        .size:           8
        .value_kind:     global_buffer
      - .actual_access:  read_only
        .address_space:  global
        .offset:         32
        .size:           8
        .value_kind:     global_buffer
      - .offset:         40
        .size:           8
        .value_kind:     by_value
      - .actual_access:  read_only
        .address_space:  global
        .offset:         48
        .size:           8
        .value_kind:     global_buffer
      - .actual_access:  read_only
        .address_space:  global
        .offset:         56
        .size:           8
        .value_kind:     global_buffer
      - .offset:         64
        .size:           4
        .value_kind:     by_value
      - .actual_access:  read_only
        .address_space:  global
        .offset:         72
        .size:           8
        .value_kind:     global_buffer
      - .actual_access:  read_only
        .address_space:  global
        .offset:         80
        .size:           8
        .value_kind:     global_buffer
      - .actual_access:  read_only
        .address_space:  global
        .offset:         88
        .size:           8
        .value_kind:     global_buffer
      - .actual_access:  write_only
        .address_space:  global
        .offset:         96
        .size:           8
        .value_kind:     global_buffer
    .group_segment_fixed_size: 0
    .kernarg_segment_align: 8
    .kernarg_segment_size: 104
    .language:       OpenCL C
    .language_version:
      - 2
      - 0
    .max_flat_workgroup_size: 51
    .name:           fft_rtc_fwd_len595_factors_7_17_5_wgs_51_tpt_17_halfLds_sp_op_CI_CI_sbrr_dirReg
    .private_segment_fixed_size: 0
    .sgpr_count:     33
    .sgpr_spill_count: 0
    .symbol:         fft_rtc_fwd_len595_factors_7_17_5_wgs_51_tpt_17_halfLds_sp_op_CI_CI_sbrr_dirReg.kd
    .uniform_work_group_size: 1
    .uses_dynamic_stack: false
    .vgpr_count:     221
    .vgpr_spill_count: 0
    .wavefront_size: 32
    .workgroup_processor_mode: 1
amdhsa.target:   amdgcn-amd-amdhsa--gfx1030
amdhsa.version:
  - 1
  - 2
...

	.end_amdgpu_metadata
